;; amdgpu-corpus repo=ROCm/rocFFT kind=compiled arch=gfx1030 opt=O3
	.text
	.amdgcn_target "amdgcn-amd-amdhsa--gfx1030"
	.amdhsa_code_object_version 6
	.protected	fft_rtc_fwd_len2040_factors_17_4_3_10_wgs_170_tpt_170_halfLds_half_ip_CI_sbrr_dirReg ; -- Begin function fft_rtc_fwd_len2040_factors_17_4_3_10_wgs_170_tpt_170_halfLds_half_ip_CI_sbrr_dirReg
	.globl	fft_rtc_fwd_len2040_factors_17_4_3_10_wgs_170_tpt_170_halfLds_half_ip_CI_sbrr_dirReg
	.p2align	8
	.type	fft_rtc_fwd_len2040_factors_17_4_3_10_wgs_170_tpt_170_halfLds_half_ip_CI_sbrr_dirReg,@function
fft_rtc_fwd_len2040_factors_17_4_3_10_wgs_170_tpt_170_halfLds_half_ip_CI_sbrr_dirReg: ; @fft_rtc_fwd_len2040_factors_17_4_3_10_wgs_170_tpt_170_halfLds_half_ip_CI_sbrr_dirReg
; %bb.0:
	s_clause 0x2
	s_load_dwordx2 s[14:15], s[4:5], 0x18
	s_load_dwordx4 s[8:11], s[4:5], 0x0
	s_load_dwordx2 s[12:13], s[4:5], 0x50
	v_mul_u32_u24_e32 v1, 0x182, v0
	v_mov_b32_e32 v3, 0
	v_add_nc_u32_sdwa v5, s6, v1 dst_sel:DWORD dst_unused:UNUSED_PAD src0_sel:DWORD src1_sel:WORD_1
	v_mov_b32_e32 v1, 0
	v_mov_b32_e32 v6, v3
	v_mov_b32_e32 v2, 0
	s_waitcnt lgkmcnt(0)
	s_load_dwordx2 s[2:3], s[14:15], 0x0
	v_cmp_lt_u64_e64 s0, s[10:11], 2
	s_and_b32 vcc_lo, exec_lo, s0
	s_cbranch_vccnz .LBB0_8
; %bb.1:
	s_load_dwordx2 s[0:1], s[4:5], 0x10
	v_mov_b32_e32 v1, 0
	s_add_u32 s6, s14, 8
	v_mov_b32_e32 v2, 0
	s_addc_u32 s7, s15, 0
	s_mov_b64 s[18:19], 1
	s_waitcnt lgkmcnt(0)
	s_add_u32 s16, s0, 8
	s_addc_u32 s17, s1, 0
.LBB0_2:                                ; =>This Inner Loop Header: Depth=1
	s_load_dwordx2 s[20:21], s[16:17], 0x0
                                        ; implicit-def: $vgpr7_vgpr8
	s_mov_b32 s0, exec_lo
	s_waitcnt lgkmcnt(0)
	v_or_b32_e32 v4, s21, v6
	v_cmpx_ne_u64_e32 0, v[3:4]
	s_xor_b32 s1, exec_lo, s0
	s_cbranch_execz .LBB0_4
; %bb.3:                                ;   in Loop: Header=BB0_2 Depth=1
	v_cvt_f32_u32_e32 v4, s20
	v_cvt_f32_u32_e32 v7, s21
	s_sub_u32 s0, 0, s20
	s_subb_u32 s22, 0, s21
	v_fmac_f32_e32 v4, 0x4f800000, v7
	v_rcp_f32_e32 v4, v4
	v_mul_f32_e32 v4, 0x5f7ffffc, v4
	v_mul_f32_e32 v7, 0x2f800000, v4
	v_trunc_f32_e32 v7, v7
	v_fmac_f32_e32 v4, 0xcf800000, v7
	v_cvt_u32_f32_e32 v7, v7
	v_cvt_u32_f32_e32 v4, v4
	v_mul_lo_u32 v8, s0, v7
	v_mul_hi_u32 v9, s0, v4
	v_mul_lo_u32 v10, s22, v4
	v_add_nc_u32_e32 v8, v9, v8
	v_mul_lo_u32 v9, s0, v4
	v_add_nc_u32_e32 v8, v8, v10
	v_mul_hi_u32 v10, v4, v9
	v_mul_lo_u32 v11, v4, v8
	v_mul_hi_u32 v12, v4, v8
	v_mul_hi_u32 v13, v7, v9
	v_mul_lo_u32 v9, v7, v9
	v_mul_hi_u32 v14, v7, v8
	v_mul_lo_u32 v8, v7, v8
	v_add_co_u32 v10, vcc_lo, v10, v11
	v_add_co_ci_u32_e32 v11, vcc_lo, 0, v12, vcc_lo
	v_add_co_u32 v9, vcc_lo, v10, v9
	v_add_co_ci_u32_e32 v9, vcc_lo, v11, v13, vcc_lo
	v_add_co_ci_u32_e32 v10, vcc_lo, 0, v14, vcc_lo
	v_add_co_u32 v8, vcc_lo, v9, v8
	v_add_co_ci_u32_e32 v9, vcc_lo, 0, v10, vcc_lo
	v_add_co_u32 v4, vcc_lo, v4, v8
	v_add_co_ci_u32_e32 v7, vcc_lo, v7, v9, vcc_lo
	v_mul_hi_u32 v8, s0, v4
	v_mul_lo_u32 v10, s22, v4
	v_mul_lo_u32 v9, s0, v7
	v_add_nc_u32_e32 v8, v8, v9
	v_mul_lo_u32 v9, s0, v4
	v_add_nc_u32_e32 v8, v8, v10
	v_mul_hi_u32 v10, v4, v9
	v_mul_lo_u32 v11, v4, v8
	v_mul_hi_u32 v12, v4, v8
	v_mul_hi_u32 v13, v7, v9
	v_mul_lo_u32 v9, v7, v9
	v_mul_hi_u32 v14, v7, v8
	v_mul_lo_u32 v8, v7, v8
	v_add_co_u32 v10, vcc_lo, v10, v11
	v_add_co_ci_u32_e32 v11, vcc_lo, 0, v12, vcc_lo
	v_add_co_u32 v9, vcc_lo, v10, v9
	v_add_co_ci_u32_e32 v9, vcc_lo, v11, v13, vcc_lo
	v_add_co_ci_u32_e32 v10, vcc_lo, 0, v14, vcc_lo
	v_add_co_u32 v8, vcc_lo, v9, v8
	v_add_co_ci_u32_e32 v9, vcc_lo, 0, v10, vcc_lo
	v_add_co_u32 v4, vcc_lo, v4, v8
	v_add_co_ci_u32_e32 v11, vcc_lo, v7, v9, vcc_lo
	v_mul_hi_u32 v13, v5, v4
	v_mad_u64_u32 v[9:10], null, v6, v4, 0
	v_mad_u64_u32 v[7:8], null, v5, v11, 0
	;; [unrolled: 1-line block ×3, first 2 shown]
	v_add_co_u32 v4, vcc_lo, v13, v7
	v_add_co_ci_u32_e32 v7, vcc_lo, 0, v8, vcc_lo
	v_add_co_u32 v4, vcc_lo, v4, v9
	v_add_co_ci_u32_e32 v4, vcc_lo, v7, v10, vcc_lo
	v_add_co_ci_u32_e32 v7, vcc_lo, 0, v12, vcc_lo
	v_add_co_u32 v4, vcc_lo, v4, v11
	v_add_co_ci_u32_e32 v9, vcc_lo, 0, v7, vcc_lo
	v_mul_lo_u32 v10, s21, v4
	v_mad_u64_u32 v[7:8], null, s20, v4, 0
	v_mul_lo_u32 v11, s20, v9
	v_sub_co_u32 v7, vcc_lo, v5, v7
	v_add3_u32 v8, v8, v11, v10
	v_sub_nc_u32_e32 v10, v6, v8
	v_subrev_co_ci_u32_e64 v10, s0, s21, v10, vcc_lo
	v_add_co_u32 v11, s0, v4, 2
	v_add_co_ci_u32_e64 v12, s0, 0, v9, s0
	v_sub_co_u32 v13, s0, v7, s20
	v_sub_co_ci_u32_e32 v8, vcc_lo, v6, v8, vcc_lo
	v_subrev_co_ci_u32_e64 v10, s0, 0, v10, s0
	v_cmp_le_u32_e32 vcc_lo, s20, v13
	v_cmp_eq_u32_e64 s0, s21, v8
	v_cndmask_b32_e64 v13, 0, -1, vcc_lo
	v_cmp_le_u32_e32 vcc_lo, s21, v10
	v_cndmask_b32_e64 v14, 0, -1, vcc_lo
	v_cmp_le_u32_e32 vcc_lo, s20, v7
	;; [unrolled: 2-line block ×3, first 2 shown]
	v_cndmask_b32_e64 v15, 0, -1, vcc_lo
	v_cmp_eq_u32_e32 vcc_lo, s21, v10
	v_cndmask_b32_e64 v7, v15, v7, s0
	v_cndmask_b32_e32 v10, v14, v13, vcc_lo
	v_add_co_u32 v13, vcc_lo, v4, 1
	v_add_co_ci_u32_e32 v14, vcc_lo, 0, v9, vcc_lo
	v_cmp_ne_u32_e32 vcc_lo, 0, v10
	v_cndmask_b32_e32 v8, v14, v12, vcc_lo
	v_cndmask_b32_e32 v10, v13, v11, vcc_lo
	v_cmp_ne_u32_e32 vcc_lo, 0, v7
	v_cndmask_b32_e32 v8, v9, v8, vcc_lo
	v_cndmask_b32_e32 v7, v4, v10, vcc_lo
.LBB0_4:                                ;   in Loop: Header=BB0_2 Depth=1
	s_andn2_saveexec_b32 s0, s1
	s_cbranch_execz .LBB0_6
; %bb.5:                                ;   in Loop: Header=BB0_2 Depth=1
	v_cvt_f32_u32_e32 v4, s20
	s_sub_i32 s1, 0, s20
	v_rcp_iflag_f32_e32 v4, v4
	v_mul_f32_e32 v4, 0x4f7ffffe, v4
	v_cvt_u32_f32_e32 v4, v4
	v_mul_lo_u32 v7, s1, v4
	v_mul_hi_u32 v7, v4, v7
	v_add_nc_u32_e32 v4, v4, v7
	v_mul_hi_u32 v4, v5, v4
	v_mul_lo_u32 v7, v4, s20
	v_add_nc_u32_e32 v8, 1, v4
	v_sub_nc_u32_e32 v7, v5, v7
	v_subrev_nc_u32_e32 v9, s20, v7
	v_cmp_le_u32_e32 vcc_lo, s20, v7
	v_cndmask_b32_e32 v7, v7, v9, vcc_lo
	v_cndmask_b32_e32 v4, v4, v8, vcc_lo
	v_cmp_le_u32_e32 vcc_lo, s20, v7
	v_add_nc_u32_e32 v8, 1, v4
	v_cndmask_b32_e32 v7, v4, v8, vcc_lo
	v_mov_b32_e32 v8, v3
.LBB0_6:                                ;   in Loop: Header=BB0_2 Depth=1
	s_or_b32 exec_lo, exec_lo, s0
	s_load_dwordx2 s[0:1], s[6:7], 0x0
	v_mul_lo_u32 v4, v8, s20
	v_mul_lo_u32 v11, v7, s21
	v_mad_u64_u32 v[9:10], null, v7, s20, 0
	s_add_u32 s18, s18, 1
	s_addc_u32 s19, s19, 0
	s_add_u32 s6, s6, 8
	s_addc_u32 s7, s7, 0
	;; [unrolled: 2-line block ×3, first 2 shown]
	v_add3_u32 v4, v10, v11, v4
	v_sub_co_u32 v5, vcc_lo, v5, v9
	v_sub_co_ci_u32_e32 v4, vcc_lo, v6, v4, vcc_lo
	s_waitcnt lgkmcnt(0)
	v_mul_lo_u32 v6, s1, v5
	v_mul_lo_u32 v4, s0, v4
	v_mad_u64_u32 v[1:2], null, s0, v5, v[1:2]
	v_cmp_ge_u64_e64 s0, s[18:19], s[10:11]
	s_and_b32 vcc_lo, exec_lo, s0
	v_add3_u32 v2, v6, v2, v4
	s_cbranch_vccnz .LBB0_9
; %bb.7:                                ;   in Loop: Header=BB0_2 Depth=1
	v_mov_b32_e32 v5, v7
	v_mov_b32_e32 v6, v8
	s_branch .LBB0_2
.LBB0_8:
	v_mov_b32_e32 v8, v6
	v_mov_b32_e32 v7, v5
.LBB0_9:
	s_lshl_b64 s[0:1], s[10:11], 3
	v_mul_hi_u32 v3, 0x1818182, v0
	s_add_u32 s0, s14, s0
	s_addc_u32 s1, s15, s1
	v_mov_b32_e32 v38, 0
	s_load_dwordx2 s[0:1], s[0:1], 0x0
	s_load_dwordx2 s[4:5], s[4:5], 0x20
	v_mov_b32_e32 v9, 0
                                        ; implicit-def: $vgpr25
                                        ; implicit-def: $vgpr28
                                        ; implicit-def: $vgpr24
                                        ; implicit-def: $vgpr29
                                        ; implicit-def: $vgpr23
                                        ; implicit-def: $vgpr26
                                        ; implicit-def: $vgpr22
                                        ; implicit-def: $vgpr27
                                        ; implicit-def: $vgpr21
                                        ; implicit-def: $vgpr20
                                        ; implicit-def: $vgpr19
                                        ; implicit-def: $vgpr18
                                        ; implicit-def: $vgpr17
                                        ; implicit-def: $vgpr30
                                        ; implicit-def: $vgpr15
                                        ; implicit-def: $vgpr31
                                        ; implicit-def: $vgpr14
                                        ; implicit-def: $vgpr32
                                        ; implicit-def: $vgpr10
                                        ; implicit-def: $vgpr37
                                        ; implicit-def: $vgpr11
                                        ; implicit-def: $vgpr36
                                        ; implicit-def: $vgpr12
                                        ; implicit-def: $vgpr35
                                        ; implicit-def: $vgpr13
                                        ; implicit-def: $vgpr34
                                        ; implicit-def: $vgpr16
                                        ; implicit-def: $vgpr33
	v_mul_u32_u24_e32 v3, 0xaa, v3
	v_sub_nc_u32_e32 v6, v0, v3
	s_waitcnt lgkmcnt(0)
	v_mul_lo_u32 v4, s0, v8
	v_mul_lo_u32 v5, s1, v7
	v_mad_u64_u32 v[1:2], null, s0, v7, v[1:2]
	v_cmp_gt_u64_e32 vcc_lo, s[4:5], v[7:8]
	v_cmp_gt_u32_e64 s0, 0x78, v6
                                        ; implicit-def: $vgpr8
	s_and_b32 s1, vcc_lo, s0
	v_add3_u32 v2, v5, v2, v4
                                        ; implicit-def: $vgpr5
                                        ; implicit-def: $vgpr4
	v_lshlrev_b64 v[2:3], 2, v[1:2]
	s_and_saveexec_b32 s4, s1
	s_cbranch_execz .LBB0_11
; %bb.10:
	v_mad_u64_u32 v[0:1], null, s2, v6, 0
	v_add_nc_u32_e32 v10, 0x78, v6
	v_add_nc_u32_e32 v13, 0xf0, v6
	;; [unrolled: 1-line block ×4, first 2 shown]
	v_add_co_u32 v33, s1, s12, v2
	v_mad_u64_u32 v[4:5], null, s2, v10, 0
	v_mad_u64_u32 v[7:8], null, s3, v6, v[1:2]
	;; [unrolled: 1-line block ×3, first 2 shown]
	v_add_co_ci_u32_e64 v34, s1, s13, v3, s1
	v_mad_u64_u32 v[10:11], null, s3, v10, v[5:6]
	v_mad_u64_u32 v[11:12], null, s2, v15, 0
	v_mov_b32_e32 v1, v7
	v_mov_b32_e32 v7, v9
	v_add_nc_u32_e32 v21, 0x2d0, v6
	v_add_nc_u32_e32 v23, 0x348, v6
	v_mov_b32_e32 v5, v10
	v_lshlrev_b64 v[0:1], 2, v[0:1]
	v_mad_u64_u32 v[9:10], null, s3, v13, v[7:8]
	v_add_nc_u32_e32 v10, 0x1e0, v6
	v_mov_b32_e32 v7, v12
	v_lshlrev_b64 v[4:5], 2, v[4:5]
	v_add_co_u32 v0, s1, v33, v0
	v_mad_u64_u32 v[13:14], null, s2, v10, 0
	v_mad_u64_u32 v[15:16], null, s3, v15, v[7:8]
	v_lshlrev_b64 v[7:8], 2, v[8:9]
	v_add_co_ci_u32_e64 v1, s1, v34, v1, s1
	v_add_co_u32 v4, s1, v33, v4
	v_mov_b32_e32 v9, v14
	v_mov_b32_e32 v12, v15
	v_mad_u64_u32 v[15:16], null, s2, v19, 0
	v_mad_u64_u32 v[17:18], null, s2, v21, 0
	;; [unrolled: 1-line block ×3, first 2 shown]
	v_lshlrev_b64 v[10:11], 2, v[11:12]
	v_add_co_ci_u32_e64 v5, s1, v34, v5, s1
	v_mov_b32_e32 v12, v16
	v_add_co_u32 v7, s1, v33, v7
	v_mov_b32_e32 v14, v9
	v_add_co_ci_u32_e64 v8, s1, v34, v8, s1
	v_mad_u64_u32 v[19:20], null, s3, v19, v[12:13]
	v_add_co_u32 v9, s1, v33, v10
	v_add_co_ci_u32_e64 v10, s1, v34, v11, s1
	v_lshlrev_b64 v[11:12], 2, v[13:14]
	v_mov_b32_e32 v13, v18
	v_mov_b32_e32 v16, v19
	v_mad_u64_u32 v[19:20], null, s2, v23, 0
	v_add_nc_u32_e32 v25, 0x3c0, v6
	v_mad_u64_u32 v[13:14], null, s3, v21, v[13:14]
	v_lshlrev_b64 v[14:15], 2, v[15:16]
	v_add_co_u32 v11, s1, v33, v11
	v_mov_b32_e32 v16, v20
	v_mad_u64_u32 v[21:22], null, s2, v25, 0
	v_mov_b32_e32 v18, v13
	v_add_co_ci_u32_e64 v12, s1, v34, v12, s1
	v_mad_u64_u32 v[23:24], null, s3, v23, v[16:17]
	v_add_co_u32 v13, s1, v33, v14
	v_lshlrev_b64 v[16:17], 2, v[17:18]
	v_add_co_ci_u32_e64 v14, s1, v34, v15, s1
	v_mov_b32_e32 v15, v22
	v_add_nc_u32_e32 v26, 0x438, v6
	v_mov_b32_e32 v20, v23
	v_add_nc_u32_e32 v27, 0x4b0, v6
	v_mad_u64_u32 v[22:23], null, s3, v25, v[15:16]
	v_mad_u64_u32 v[23:24], null, s2, v26, 0
	v_add_co_u32 v15, s1, v33, v16
	v_add_co_ci_u32_e64 v16, s1, v34, v17, s1
	v_lshlrev_b64 v[17:18], 2, v[19:20]
	v_lshlrev_b64 v[20:21], 2, v[21:22]
	v_mov_b32_e32 v19, v24
	v_mad_u64_u32 v[30:31], null, s2, v27, 0
	v_add_co_u32 v17, s1, v33, v17
	v_mad_u64_u32 v[24:25], null, s3, v26, v[19:20]
	v_add_nc_u32_e32 v25, 0x528, v6
	v_add_co_ci_u32_e64 v18, s1, v34, v18, s1
	v_mov_b32_e32 v19, v31
	v_add_co_u32 v31, s1, v33, v20
	v_add_co_ci_u32_e64 v32, s1, v34, v21, s1
	v_mad_u64_u32 v[21:22], null, s2, v25, 0
	v_mad_u64_u32 v[19:20], null, s3, v27, v[19:20]
	s_clause 0x8
	global_load_dword v38, v[0:1], off
	global_load_dword v28, v[4:5], off
	;; [unrolled: 1-line block ×9, first 2 shown]
	v_add_nc_u32_e32 v7, 0x5a0, v6
	v_lshlrev_b64 v[9:10], 2, v[23:24]
	v_or_b32_e32 v32, 0x780, v6
	v_mov_b32_e32 v0, v22
	v_mad_u64_u32 v[11:12], null, s2, v7, 0
	v_mov_b32_e32 v31, v19
	v_mad_u64_u32 v[0:1], null, s3, v25, v[0:1]
	v_add_nc_u32_e32 v19, 0x618, v6
	v_add_nc_u32_e32 v25, 0x690, v6
	v_lshlrev_b64 v[13:14], 2, v[30:31]
	v_mad_u64_u32 v[30:31], null, s2, v32, 0
	v_mad_u64_u32 v[15:16], null, s2, v19, 0
	v_mov_b32_e32 v22, v0
	v_mov_b32_e32 v0, v12
	v_mad_u64_u32 v[17:18], null, s2, v25, 0
	v_add_co_u32 v9, s1, v33, v9
	v_mad_u64_u32 v[0:1], null, s3, v7, v[0:1]
	v_add_nc_u32_e32 v7, 0x708, v6
	v_mov_b32_e32 v1, v16
	v_lshlrev_b64 v[21:22], 2, v[21:22]
	v_add_co_ci_u32_e64 v10, s1, v34, v10, s1
	v_mad_u64_u32 v[23:24], null, s2, v7, 0
	v_mov_b32_e32 v12, v0
	v_mad_u64_u32 v[0:1], null, s3, v19, v[1:2]
	v_mov_b32_e32 v1, v18
	v_add_co_u32 v13, s1, v33, v13
	v_lshlrev_b64 v[11:12], 2, v[11:12]
	v_add_co_ci_u32_e64 v14, s1, v34, v14, s1
	v_mad_u64_u32 v[18:19], null, s3, v25, v[1:2]
	v_mov_b32_e32 v1, v24
	v_mov_b32_e32 v16, v0
	v_add_co_u32 v21, s1, v33, v21
	v_add_co_ci_u32_e64 v22, s1, v34, v22, s1
	v_mad_u64_u32 v[0:1], null, s3, v7, v[1:2]
	v_mov_b32_e32 v1, v31
	v_lshlrev_b64 v[15:16], 2, v[15:16]
	v_add_co_u32 v11, s1, v33, v11
	v_add_co_ci_u32_e64 v12, s1, v34, v12, s1
	v_mad_u64_u32 v[31:32], null, s3, v32, v[1:2]
	v_mov_b32_e32 v24, v0
	v_lshlrev_b64 v[17:18], 2, v[17:18]
	v_add_co_u32 v0, s1, v33, v15
	v_add_co_ci_u32_e64 v1, s1, v34, v16, s1
	v_lshlrev_b64 v[15:16], 2, v[23:24]
	v_add_co_u32 v17, s1, v33, v17
	v_lshlrev_b64 v[23:24], 2, v[30:31]
	v_add_co_ci_u32_e64 v18, s1, v34, v18, s1
	v_add_co_u32 v15, s1, v33, v15
	v_add_co_ci_u32_e64 v16, s1, v34, v16, s1
	v_add_co_u32 v23, s1, v33, v23
	v_add_co_ci_u32_e64 v24, s1, v34, v24, s1
	s_clause 0x7
	global_load_dword v31, v[13:14], off
	global_load_dword v32, v[21:22], off
	;; [unrolled: 1-line block ×8, first 2 shown]
	s_waitcnt vmcnt(15)
	v_lshrrev_b32_e32 v25, 16, v28
	s_waitcnt vmcnt(14)
	v_lshrrev_b32_e32 v24, 16, v29
	;; [unrolled: 2-line block ×15, first 2 shown]
	s_waitcnt vmcnt(0)
	v_perm_b32 v9, v38, v30, 0x7060302
.LBB0_11:
	s_or_b32 exec_lo, exec_lo, s4
	v_add_f16_e32 v39, v28, v37
	v_sub_f16_e32 v44, v25, v10
	v_add_f16_e32 v40, v29, v36
	v_sub_f16_e32 v46, v24, v11
	v_add_f16_e32 v50, v26, v35
	v_pk_mul_f16 v67, 0x3b7639e9, v39 op_sel_hi:[1,0]
	v_sub_f16_e32 v54, v23, v12
	v_pk_mul_f16 v66, 0x39e92de8, v40 op_sel_hi:[1,0]
	v_add_f16_e32 v51, v27, v34
	v_pk_mul_f16 v65, 0x3722b8d2, v50 op_sel_hi:[1,0]
	v_pk_fma_f16 v0, 0xb5c8b964, v44, v67 op_sel_hi:[1,0,1]
	v_sub_f16_e32 v55, v22, v13
	v_pk_fma_f16 v1, 0xb964bbf7, v46, v66 op_sel_hi:[1,0,1]
	v_add_f16_e32 v52, v20, v33
	v_pk_mul_f16 v63, 0x2de8bbdd, v51 op_sel_hi:[1,0]
	v_pk_add_f16 v0, v38, v0 op_sel_hi:[0,1]
	v_pk_fma_f16 v7, 0xbb29ba62, v54, v65 op_sel_hi:[1,0,1]
	v_sub_f16_e32 v57, v21, v16
	v_add_f16_e32 v53, v8, v32
	v_pk_mul_f16 v62, 0xb461bacd, v52 op_sel_hi:[1,0]
	v_pk_add_f16 v0, v0, v1
	v_pk_mul_f16 v56, 0x37222de8, v39 op_sel_hi:[1,0]
	v_pk_fma_f16 v1, 0xbbf7b1e1, v55, v63 op_sel_hi:[1,0,1]
	v_sub_f16_e32 v59, v19, v14
	v_pk_mul_f16 v58, 0xb8d2b461, v53 op_sel_hi:[1,0]
	v_pk_add_f16 v0, v0, v7
	v_pk_mul_f16 v48, 0xb8d2bbdd, v40 op_sel_hi:[1,0]
	v_pk_fma_f16 v7, 0xbb29bbf7, v44, v56 op_sel_hi:[1,0,1]
	v_pk_fma_f16 v41, 0xbbb23836, v57, v62 op_sel_hi:[1,0,1]
	v_mul_f16_e32 v77, 0xb461, v39
	v_pk_add_f16 v0, v0, v1
	v_add_f16_e32 v60, v5, v31
	v_pk_mul_f16 v47, 0xbbddb461, v50 op_sel_hi:[1,0]
	v_pk_fma_f16 v1, 0xba62b1e1, v46, v48 op_sel_hi:[1,0,1]
	v_pk_add_f16 v7, v38, v7 op_sel_hi:[0,1]
	v_pk_fma_f16 v42, 0xba623bb2, v59, v58 op_sel_hi:[1,0,1]
	v_pk_add_f16 v0, v0, v41
	v_fmamk_f16 v41, v44, 0xbbb2, v77
	v_mul_f16_e32 v78, 0xbacd, v40
	v_sub_f16_e32 v68, v18, v15
	v_pk_add_f16 v1, v7, v1
	v_pk_fma_f16 v7, 0x31e13bb2, v54, v47 op_sel_hi:[1,0,1]
	v_pk_mul_f16 v61, 0xbacd3722, v60 op_sel_hi:[1,0]
	v_pk_add_f16 v0, v42, v0
	v_add_f16_e32 v41, v38, v41
	v_fmamk_f16 v42, v46, 0x3836, v78
	v_mul_f16_e32 v76, 0x39e9, v50
	v_pk_add_f16 v1, v1, v7
	v_pk_fma_f16 v7, 0xb8363b29, v68, v61 op_sel_hi:[1,0,1]
	v_pk_mul_f16 v49, 0xb4613b76, v51 op_sel_hi:[1,0]
	v_add_f16_e32 v41, v41, v42
	v_fmamk_f16 v42, v54, 0x3964, v76
	v_mul_f16_e32 v75, 0x3722, v51
	v_pk_add_f16 v0, v7, v0
	v_pk_fma_f16 v7, 0x3bb235c8, v55, v49 op_sel_hi:[1,0,1]
	v_pk_mul_f16 v45, 0x39e93722, v52 op_sel_hi:[1,0]
	v_add_f16_e32 v42, v41, v42
	v_fmamk_f16 v64, v55, 0xbb29, v75
	v_mul_f16_e32 v74, 0xbbdd, v52
	v_pk_add_f16 v1, v1, v7
	v_pk_fma_f16 v7, 0x3964bb29, v57, v45 op_sel_hi:[1,0,1]
	v_pk_mul_f16 v43, 0x3b76bacd, v53 op_sel_hi:[1,0]
	v_add_f16_e32 v42, v42, v64
	v_fmamk_f16 v64, v57, 0xb1e1, v74
	v_mul_f16_e32 v73, 0x2de8, v53
	v_pk_add_f16 v1, v1, v7
	v_pk_fma_f16 v7, 0xb5c8b836, v59, v43 op_sel_hi:[1,0,1]
	v_pk_mul_f16 v41, 0x2de8b8d2, v60 op_sel_hi:[1,0]
	v_add_f16_e32 v70, v4, v30
	v_add_f16_e32 v69, v42, v64
	v_fmamk_f16 v79, v59, 0x3bf7, v73
	v_mul_f16_e32 v72, 0x3b76, v60
	v_pk_add_f16 v1, v7, v1
	v_pk_fma_f16 v7, 0xbbf73a62, v68, v41 op_sel_hi:[1,0,1]
	v_sub_f16_e32 v71, v17, v9
	v_pk_mul_f16 v64, 0xbbdd3b76, v70 op_sel_hi:[1,0]
	v_pk_mul_f16 v42, 0xbacd39e9, v70 op_sel_hi:[1,0]
	v_add_f16_e32 v79, v79, v69
	v_fmamk_f16 v80, v68, 0xb5c8, v72
	v_mul_f16_e32 v69, 0xb8d2, v70
	v_pk_add_f16 v7, v7, v1
	v_pk_fma_f16 v1, 0xb1e135c8, v71, v64 op_sel_hi:[1,0,1]
	v_pk_fma_f16 v81, 0xb8363964, v71, v42 op_sel_hi:[1,0,1]
	v_add_f16_e32 v79, v80, v79
	v_fmamk_f16 v80, v71, 0xba62, v69
	v_pk_add_f16 v1, v1, v0
	v_pk_add_f16 v0, v81, v7
	v_add_f16_e32 v7, v80, v79
	s_and_saveexec_b32 s1, s0
	s_cbranch_execz .LBB0_13
; %bb.12:
	v_mul_f16_e32 v88, 0xb1e1, v44
	v_pack_b32_f16 v83, v39, v39
	v_pack_b32_f16 v84, v44, v44
	v_mul_f16_e32 v94, 0x35c8, v46
	v_pack_b32_f16 v85, v40, v40
	v_fma_f16 v93, v39, 0xbbdd, -v88
	v_pack_b32_f16 v86, v46, v46
	v_mul_f16_e32 v97, 0xb836, v54
	v_fma_f16 v98, v40, 0x3b76, -v94
	v_pk_mul_f16 v101, 0xbacdb8d2, v83
	v_add_f16_e32 v93, v38, v93
	v_pk_mul_f16 v84, 0xb836ba62, v84
	v_pack_b32_f16 v87, v50, v50
	v_pack_b32_f16 v89, v54, v54
	v_mul_f16_e32 v99, 0x3964, v55
	v_add_f16_e32 v93, v93, v98
	v_fma_f16 v98, v50, 0xbacd, -v97
	v_pk_mul_f16 v103, 0x3722b461, v85
	v_add_f16_e32 v104, v84, v101
	v_pk_mul_f16 v86, 0x3b293bb2, v86
	v_mul_f16_e32 v79, 0xbbb2, v44
	v_pack_b32_f16 v90, v51, v51
	v_pack_b32_f16 v91, v55, v55
	v_mul_f16_e32 v100, 0xba62, v57
	v_add_f16_e32 v93, v93, v98
	v_fma_f16 v98, v51, 0x39e9, -v99
	v_pk_mul_f16 v105, 0x2de83b76, v87
	v_add_f16_e32 v104, v38, v104
	v_add_f16_e32 v106, v86, v103
	v_pk_mul_f16 v89, 0xbbf7b5c8, v89
	v_mul_f16_e32 v80, 0x3836, v46
	v_mul_f16_e32 v102, 0x3b29, v59
	v_add_f16_e32 v93, v93, v98
	v_fma_f16 v98, v52, 0xb8d2, -v100
	v_pk_mul_f16 v107, 0xb8d2bacd, v90
	v_add_f16_e32 v104, v104, v106
	v_add_f16_e32 v106, v89, v105
	v_pk_mul_f16 v91, 0x3a62b836, v91
	v_sub_f16_e32 v77, v77, v79
	v_mul_f16_e32 v81, 0x3964, v54
	v_add_f16_e32 v93, v93, v98
	v_fma_f16 v98, v53, 0x3722, -v102
	v_add_f16_e32 v104, v104, v106
	v_add_f16_e32 v106, v91, v107
	v_mul_f16_e32 v109, 0xbbb2, v68
	v_sub_f16_e32 v78, v78, v80
	v_add_f16_e32 v77, v38, v77
	v_add_f16_e32 v93, v98, v93
	;; [unrolled: 1-line block ×3, first 2 shown]
	v_fma_f16 v106, v60, 0xb461, -v109
	v_sub_f16_e32 v76, v76, v81
	v_add_f16_e32 v77, v77, v78
	v_mul_f16_e32 v78, 0x3bf7, v71
	v_mul_f16_e32 v82, 0xbb29, v55
	v_add_f16_e32 v93, v106, v93
	v_add_f16_e32 v113, v38, v28
	v_add_f16_e32 v76, v77, v76
	v_fma_f16 v77, v70, 0x2de8, -v78
	v_pack_b32_f16 v92, v52, v52
	v_pack_b32_f16 v95, v57, v57
	v_sub_f16_e32 v75, v75, v82
	v_pack_b32_f16 v96, v53, v53
	v_add_f16_e32 v77, v77, v93
	v_mul_f16_e32 v93, 0xb1e1, v57
	v_pack_b32_f16 v108, v59, v59
	v_pk_mul_f16 v98, 0x3b762de8, v92
	v_pk_mul_f16 v95, 0xb5c83bf7, v95
	v_add_f16_e32 v75, v76, v75
	v_sub_f16_e32 v74, v74, v93
	v_add_f16_e32 v93, v113, v29
	v_pk_mul_f16 v79, 0xbbdd39e9, v96
	v_add_f16_e32 v80, v95, v98
	v_pk_mul_f16 v108, 0xb1e1b964, v108
	v_pack_b32_f16 v106, v60, v60
	v_add_f16_e32 v93, v93, v26
	v_pack_b32_f16 v110, v68, v68
	v_add_f16_e32 v74, v75, v74
	v_pk_mul_f16 v112, 0xb5c8b964, v44 op_sel_hi:[1,0]
	v_pk_mul_f16 v44, 0xbb29bbf7, v44 op_sel_hi:[1,0]
	v_add_f16_e32 v75, v93, v27
	v_add_f16_e32 v80, v104, v80
	;; [unrolled: 1-line block ×3, first 2 shown]
	v_pk_mul_f16 v81, 0x39e9bbdd, v106
	v_pk_mul_f16 v110, 0x3964b1e1, v110
	v_add_f16_e32 v75, v75, v20
	v_pk_add_f16 v67, v67, v112 neg_lo:[0,1] neg_hi:[0,1]
	v_pk_mul_f16 v112, 0xb964bbf7, v46 op_sel_hi:[1,0]
	v_perm_b32 v38, v38, v38, 0x5040100
	v_pk_mul_f16 v46, 0xba62b1e1, v46 op_sel_hi:[1,0]
	v_pk_add_f16 v44, v56, v44 neg_lo:[0,1] neg_hi:[0,1]
	v_add_f16_e32 v80, v104, v80
	v_add_f16_e32 v82, v110, v81
	v_pack_b32_f16 v104, v70, v70
	v_pack_b32_f16 v111, v71, v71
	v_add_f16_e32 v75, v75, v8
	v_pk_add_f16 v66, v66, v112 neg_lo:[0,1] neg_hi:[0,1]
	v_pk_add_f16 v67, v38, v67
	v_pk_mul_f16 v112, 0xbb29ba62, v54 op_sel_hi:[1,0]
	v_pk_mul_f16 v54, 0x31e13bb2, v54 op_sel_hi:[1,0]
	v_mul_f16_e32 v39, 0xbbdd, v39
	v_pk_add_f16 v44, v38, v44
	v_pk_add_f16 v46, v48, v46 neg_lo:[0,1] neg_hi:[0,1]
	v_add_f16_e32 v80, v82, v80
	v_pk_mul_f16 v82, 0xb4613722, v104
	v_pk_mul_f16 v111, 0xbbb23b29, v111
	v_add_f16_e32 v75, v75, v5
	v_pk_add_f16 v66, v67, v66
	v_pk_mul_f16 v67, 0xbbf7b1e1, v55 op_sel_hi:[1,0]
	v_pk_mul_f16 v55, 0x3bb235c8, v55 op_sel_hi:[1,0]
	v_mul_f16_e32 v40, 0x3b76, v40
	v_pk_add_f16 v44, v44, v46
	v_pk_add_f16 v46, v47, v54 neg_lo:[0,1] neg_hi:[0,1]
	v_bfi_b32 v54, 0xffff, v88, v84
	v_bfi_b32 v39, 0xffff, v39, v101
	v_add_f16_e32 v76, v111, v82
	v_add_f16_e32 v75, v75, v4
	v_pk_add_f16 v65, v65, v112 neg_lo:[0,1] neg_hi:[0,1]
	v_mul_f16_e32 v50, 0xbacd, v50
	v_pk_add_f16 v44, v44, v46
	v_pk_add_f16 v46, v49, v55 neg_lo:[0,1] neg_hi:[0,1]
	v_pk_fma_f16 v49, 0xbacdb8d2, v83, v84 neg_lo:[0,0,1] neg_hi:[0,0,1]
	v_pk_add_f16 v39, v54, v39
	v_bfi_b32 v54, 0xffff, v94, v86
	v_bfi_b32 v40, 0xffff, v40, v103
	v_add_f16_e32 v76, v76, v80
	v_mul_f16_e32 v80, 0x3bf7, v59
	v_add_f16_e32 v75, v75, v30
	v_pk_add_f16 v65, v66, v65
	v_pk_mul_f16 v66, 0xbbb23836, v57 op_sel_hi:[1,0]
	v_pk_mul_f16 v57, 0x3964bb29, v57 op_sel_hi:[1,0]
	v_mul_f16_e32 v51, 0x39e9, v51
	v_pk_add_f16 v44, v44, v46
	v_pk_add_f16 v46, v38, v49
	v_pk_fma_f16 v49, 0x3722b461, v85, v86 neg_lo:[0,0,1] neg_hi:[0,0,1]
	v_pk_add_f16 v38, v38, v39
	v_pk_add_f16 v39, v54, v40
	v_bfi_b32 v40, 0xffff, v97, v89
	v_bfi_b32 v50, 0xffff, v50, v105
	v_sub_f16_e32 v73, v73, v80
	v_add_f16_e32 v75, v75, v31
	v_mul_f16_e32 v52, 0xb8d2, v52
	v_pk_add_f16 v45, v45, v57 neg_lo:[0,1] neg_hi:[0,1]
	v_pk_add_f16 v46, v46, v49
	v_pk_fma_f16 v49, 0x2de83b76, v87, v89 neg_lo:[0,0,1] neg_hi:[0,0,1]
	v_pk_add_f16 v38, v38, v39
	v_pk_add_f16 v39, v40, v50
	v_bfi_b32 v40, 0xffff, v99, v91
	v_bfi_b32 v50, 0xffff, v51, v107
	v_add_f16_e32 v73, v73, v74
	v_mul_f16_e32 v74, 0xb5c8, v68
	v_pk_add_f16 v63, v63, v67 neg_lo:[0,1] neg_hi:[0,1]
	v_add_f16_e32 v75, v75, v32
	v_pk_mul_f16 v67, 0xba623bb2, v59 op_sel_hi:[1,0]
	v_pk_mul_f16 v59, 0xb5c8b836, v59 op_sel_hi:[1,0]
	v_mul_f16_e32 v53, 0x3722, v53
	v_pk_add_f16 v44, v44, v45
	v_pk_add_f16 v45, v46, v49
	v_pk_fma_f16 v46, 0xb8d2bacd, v90, v91 neg_lo:[0,0,1] neg_hi:[0,0,1]
	v_pk_add_f16 v38, v38, v39
	v_pk_add_f16 v39, v40, v50
	v_bfi_b32 v40, 0xffff, v100, v95
	v_bfi_b32 v49, 0xffff, v52, v98
	v_sub_f16_e32 v72, v72, v74
	v_pk_add_f16 v63, v65, v63
	v_pk_mul_f16 v65, 0xb1e135c8, v71 op_sel_hi:[1,0]
	v_pk_add_f16 v62, v62, v66 neg_lo:[0,1] neg_hi:[0,1]
	v_pk_mul_f16 v66, 0xb8363964, v71 op_sel_hi:[1,0]
	v_mul_f16_e32 v71, 0xba62, v71
	v_add_f16_e32 v75, v75, v33
	v_mul_f16_e32 v60, 0xb461, v60
	v_pk_add_f16 v43, v43, v59 neg_lo:[0,1] neg_hi:[0,1]
	v_pk_add_f16 v45, v45, v46
	v_pk_fma_f16 v46, 0x3b762de8, v92, v95 neg_lo:[0,0,1] neg_hi:[0,0,1]
	v_pk_add_f16 v38, v38, v39
	v_pk_add_f16 v39, v40, v49
	v_bfi_b32 v40, 0xffff, v102, v108
	v_bfi_b32 v49, 0xffff, v53, v79
	v_pk_mul_f16 v74, 0xb8363b29, v68 op_sel_hi:[1,0]
	v_pk_mul_f16 v68, 0xbbf73a62, v68 op_sel_hi:[1,0]
	v_pk_add_f16 v62, v63, v62
	v_pk_add_f16 v58, v58, v67 neg_lo:[0,1] neg_hi:[0,1]
	v_add_f16_e32 v63, v72, v73
	v_sub_f16_e32 v56, v69, v71
	v_add_f16_e32 v67, v34, v75
	v_mul_f16_e32 v70, 0x2de8, v70
	v_pk_add_f16 v43, v43, v44
	v_pk_add_f16 v44, v45, v46
	;; [unrolled: 1-line block ×4, first 2 shown]
	v_bfi_b32 v40, 0xffff, v109, v110
	v_bfi_b32 v46, 0xffff, v60, v81
	v_pk_add_f16 v58, v58, v62
	v_pk_add_f16 v61, v61, v74 neg_lo:[0,1] neg_hi:[0,1]
	v_add_f16_e32 v48, v56, v63
	v_add_f16_e32 v56, v35, v67
	v_pk_fma_f16 v45, 0xbbdd39e9, v96, v108 neg_lo:[0,0,1] neg_hi:[0,0,1]
	v_pk_add_f16 v41, v41, v68 neg_lo:[0,1] neg_hi:[0,1]
	v_pk_add_f16 v38, v39, v38
	v_pk_add_f16 v39, v40, v46
	v_bfi_b32 v40, 0xffff, v78, v111
	v_bfi_b32 v46, 0xffff, v70, v82
	v_pk_add_f16 v58, v61, v58
	v_pk_add_f16 v61, v64, v65 neg_lo:[0,1] neg_hi:[0,1]
	v_add_f16_e32 v47, v36, v56
	v_pk_add_f16 v44, v45, v44
	v_pk_fma_f16 v45, 0x39e9bbdd, v106, v110 neg_lo:[0,0,1] neg_hi:[0,0,1]
	v_pk_add_f16 v41, v41, v43
	v_pk_add_f16 v42, v42, v66 neg_lo:[0,1] neg_hi:[0,1]
	v_pk_add_f16 v38, v39, v38
	v_pk_add_f16 v39, v40, v46
	;; [unrolled: 1-line block ×4, first 2 shown]
	v_pk_fma_f16 v40, 0xb4613722, v104, v111 neg_lo:[0,0,1] neg_hi:[0,0,1]
	v_pk_add_f16 v42, v42, v41
	v_add_f16_e32 v44, v37, v47
	v_pk_add_f16 v46, v39, v38
	v_mad_u32_u24 v45, v6, 34, 0
	v_pk_add_f16 v41, v40, v43
	v_bfi_b32 v39, 0xffff, v56, v42
	v_pack_b32_f16 v40, v42, v48
	v_bfi_b32 v38, 0xffff, v44, v56
	v_alignbit_b32 v43, v76, v46, 16
	v_pack_b32_f16 v42, v77, v46
	ds_write_b128 v45, v[38:41]
	ds_write_b64 v45, v[42:43] offset:16
	ds_write_b16 v45, v7 offset:24
	ds_write_b64 v45, v[0:1] offset:26
.LBB0_13:
	s_or_b32 exec_lo, exec_lo, s1
	v_sub_f16_e32 v69, v28, v37
	v_add_f16_e32 v48, v25, v10
	v_sub_f16_e32 v68, v29, v36
	v_add_f16_e32 v49, v24, v11
	v_sub_f16_e32 v72, v26, v35
	v_pk_mul_f16 v62, 0xb5c8b964, v69 op_sel_hi:[1,0]
	v_add_f16_e32 v44, v23, v12
	v_pk_mul_f16 v63, 0xb964bbf7, v68 op_sel_hi:[1,0]
	v_sub_f16_e32 v71, v27, v34
	v_sub_f16_e32 v73, v20, v33
	v_pk_fma_f16 v26, 0x3b7639e9, v48, v62 op_sel_hi:[1,0,1] neg_lo:[0,0,1] neg_hi:[0,0,1]
	v_pk_mul_f16 v65, 0xbb29ba62, v72 op_sel_hi:[1,0]
	v_pk_fma_f16 v20, 0x39e92de8, v49, v63 op_sel_hi:[1,0,1] neg_lo:[0,0,1] neg_hi:[0,0,1]
	v_add_f16_e32 v54, v22, v13
	v_sub_f16_e32 v74, v8, v32
	v_pk_add_f16 v26, v9, v26 op_sel:[1,0]
	v_pk_fma_f16 v8, 0x3722b8d2, v44, v65 op_sel_hi:[1,0,1] neg_lo:[0,0,1] neg_hi:[0,0,1]
	v_pk_mul_f16 v64, 0xbbf7b1e1, v71 op_sel_hi:[1,0]
	v_add_f16_e32 v55, v21, v16
	v_sub_f16_e32 v75, v5, v31
	v_pk_add_f16 v20, v26, v20
	v_pk_mul_f16 v43, 0xbb29bbf7, v69 op_sel_hi:[1,0]
	v_pk_mul_f16 v67, 0xbbb23836, v73 op_sel_hi:[1,0]
	v_add_f16_e32 v58, v19, v14
	v_sub_f16_e32 v77, v4, v30
	v_pk_add_f16 v5, v20, v8
	v_pk_fma_f16 v8, 0x2de8bbdd, v54, v64 op_sel_hi:[1,0,1] neg_lo:[0,0,1] neg_hi:[0,0,1]
	v_pk_fma_f16 v4, 0x37222de8, v48, v43 op_sel_hi:[1,0,1] neg_lo:[0,0,1] neg_hi:[0,0,1]
	v_pk_mul_f16 v45, 0xba62b1e1, v68 op_sel_hi:[1,0]
	v_pk_mul_f16 v66, 0xba623bb2, v74 op_sel_hi:[1,0]
	;; [unrolled: 1-line block ×3, first 2 shown]
	v_pk_add_f16 v5, v5, v8
	v_pk_fma_f16 v8, 0xb461bacd, v55, v67 op_sel_hi:[1,0,1] neg_lo:[0,0,1] neg_hi:[0,0,1]
	v_pk_add_f16 v4, v9, v4 op_sel:[1,0]
	v_pk_fma_f16 v20, 0xb8d2bbdd, v49, v45 op_sel_hi:[1,0,1] neg_lo:[0,0,1] neg_hi:[0,0,1]
	v_pk_mul_f16 v46, 0xba62bbb2, v69 op_sel_hi:[1,0]
	v_pk_mul_f16 v56, 0x3bb235c8, v71 op_sel_hi:[1,0]
	v_pk_add_f16 v5, v5, v8
	v_pk_fma_f16 v8, 0xb8d2b461, v58, v66 op_sel_hi:[1,0,1] neg_lo:[0,0,1] neg_hi:[0,0,1]
	v_pk_add_f16 v4, v4, v20
	v_pk_fma_f16 v20, 0xbbddb461, v44, v47 op_sel_hi:[1,0,1] neg_lo:[0,0,1] neg_hi:[0,0,1]
	v_pk_mul_f16 v50, 0x3bb23836, v68 op_sel_hi:[1,0]
	v_pk_mul_f16 v60, 0x3964bb29, v73 op_sel_hi:[1,0]
	v_pk_add_f16 v5, v8, v5
	v_pk_fma_f16 v8, 0xb8d2b461, v48, v46 op_sel_hi:[1,0,1] neg_lo:[0,0,1] neg_hi:[0,0,1]
	v_pk_add_f16 v4, v4, v20
	v_pk_fma_f16 v20, 0xb4613b76, v54, v56 op_sel_hi:[1,0,1] neg_lo:[0,0,1] neg_hi:[0,0,1]
	v_pk_fma_f16 v26, 0xb461bacd, v49, v50 op_sel_hi:[1,0,1] neg_lo:[0,0,1] neg_hi:[0,0,1]
	v_pk_mul_f16 v51, 0xb5c83964, v72 op_sel_hi:[1,0]
	v_pk_add_f16 v8, v9, v8 op_sel:[1,0]
	v_pk_mul_f16 v42, 0xb836bb29, v71 op_sel_hi:[1,0]
	v_pk_add_f16 v4, v4, v20
	v_pk_fma_f16 v20, 0x39e93722, v55, v60 op_sel_hi:[1,0,1] neg_lo:[0,0,1] neg_hi:[0,0,1]
	v_pk_mul_f16 v40, 0x3bf7b1e1, v73 op_sel_hi:[1,0]
	v_pk_add_f16 v8, v8, v26
	v_pk_fma_f16 v26, 0x3b7639e9, v44, v51 op_sel_hi:[1,0,1] neg_lo:[0,0,1] neg_hi:[0,0,1]
	v_add_f16_e32 v53, v18, v15
	v_pk_add_f16 v4, v4, v20
	v_pk_fma_f16 v20, 0xbacd3722, v54, v42 op_sel_hi:[1,0,1] neg_lo:[0,0,1] neg_hi:[0,0,1]
	v_pk_mul_f16 v76, 0xb8363b29, v75 op_sel_hi:[1,0]
	v_pk_add_f16 v8, v8, v26
	v_pk_mul_f16 v59, 0xb5c8b836, v74 op_sel_hi:[1,0]
	s_waitcnt lgkmcnt(0)
	s_barrier
	v_pk_fma_f16 v27, 0xbacd3722, v53, v76 op_sel_hi:[1,0,1] neg_lo:[0,0,1] neg_hi:[0,0,1]
	v_pk_add_f16 v8, v8, v20
	v_pk_fma_f16 v20, 0x2de8bbdd, v55, v40 op_sel_hi:[1,0,1] neg_lo:[0,0,1] neg_hi:[0,0,1]
	v_pk_fma_f16 v26, 0x3b76bacd, v58, v59 op_sel_hi:[1,0,1] neg_lo:[0,0,1] neg_hi:[0,0,1]
	buffer_gl0_inv
	v_pk_add_f16 v5, v27, v5
	v_pk_mul_f16 v39, 0xb9643bf7, v74 op_sel_hi:[1,0]
	v_pk_add_f16 v8, v8, v20
	v_lshl_add_u32 v20, v6, 1, 0
	v_pk_add_f16 v4, v26, v4
	ds_read_u16 v27, v20
	ds_read_u16 v26, v20 offset:340
	ds_read_u16 v31, v20 offset:1360
	;; [unrolled: 1-line block ×11, first 2 shown]
	v_pk_mul_f16 v61, 0xbbf73a62, v75 op_sel_hi:[1,0]
	v_pk_mul_f16 v38, 0xb1e1b5c8, v75 op_sel_hi:[1,0]
	v_pk_fma_f16 v41, 0x39e92de8, v58, v39 op_sel_hi:[1,0,1] neg_lo:[0,0,1] neg_hi:[0,0,1]
	v_add_f16_e32 v52, v17, v9
	v_pk_mul_f16 v70, 0xb1e135c8, v77 op_sel_hi:[1,0]
	v_pk_fma_f16 v78, 0x2de8b8d2, v53, v61 op_sel_hi:[1,0,1] neg_lo:[0,0,1] neg_hi:[0,0,1]
	v_pk_mul_f16 v57, 0xb8363964, v77 op_sel_hi:[1,0]
	v_pk_add_f16 v8, v41, v8
	v_pk_fma_f16 v79, 0xbbdd3b76, v53, v38 op_sel_hi:[1,0,1] neg_lo:[0,0,1] neg_hi:[0,0,1]
	v_pk_mul_f16 v41, 0x3b29ba62, v77 op_sel_hi:[1,0]
	v_pk_fma_f16 v80, 0xbbdd3b76, v52, v70 op_sel_hi:[1,0,1] neg_lo:[0,0,1] neg_hi:[0,0,1]
	v_pk_add_f16 v4, v78, v4
	v_pk_fma_f16 v78, 0xbacd39e9, v52, v57 op_sel_hi:[1,0,1] neg_lo:[0,0,1] neg_hi:[0,0,1]
	v_pk_add_f16 v8, v79, v8
	;; [unrolled: 2-line block ×3, first 2 shown]
	s_waitcnt lgkmcnt(0)
	v_pk_add_f16 v4, v78, v4
	s_barrier
	v_pk_add_f16 v8, v79, v8
	buffer_gl0_inv
	s_and_saveexec_b32 s1, s0
	s_cbranch_execz .LBB0_15
; %bb.14:
	v_add_f16_sdwa v25, v9, v25 dst_sel:DWORD dst_unused:UNUSED_PAD src0_sel:WORD_1 src1_sel:DWORD
	v_pk_mul_f16 v79, 0x3b7639e9, v48 op_sel_hi:[1,0]
	v_pk_mul_f16 v81, 0x39e92de8, v49 op_sel_hi:[1,0]
	v_bfi_b32 v17, 0xffff, v17, v62
	v_pk_mul_f16 v84, 0x2de8bbdd, v54 op_sel_hi:[1,0]
	v_add_f16_e32 v24, v25, v24
	v_pack_b32_f16 v69, v69, v69
	v_pk_add_f16 v63, v81, v63
	v_pk_mul_f16 v85, 0xb461bacd, v55 op_sel_hi:[1,0]
	v_pack_b32_f16 v78, v48, v48
	v_add_f16_e32 v23, v24, v23
	v_pk_mul_f16 v24, 0x3722b8d2, v44 op_sel_hi:[1,0]
	v_bfi_b32 v15, 0xffff, v15, v63
	v_pack_b32_f16 v68, v68, v68
	v_pack_b32_f16 v82, v44, v44
	v_add_f16_e32 v22, v23, v22
	v_pk_add_f16 v24, v24, v65
	v_pack_b32_f16 v83, v54, v54
	v_pack_b32_f16 v23, v71, v71
	;; [unrolled: 1-line block ×3, first 2 shown]
	v_add_f16_e32 v21, v22, v21
	v_bfi_b32 v14, 0xffff, v14, v24
	v_pk_mul_f16 v86, 0xb8d2b461, v58 op_sel_hi:[1,0]
	v_pk_mul_f16 v62, 0xbbddb461, v44 op_sel_hi:[1,0]
	;; [unrolled: 1-line block ×3, first 2 shown]
	v_add_f16_e32 v19, v21, v19
	v_pk_mul_f16 v24, 0x3b7639e9, v44 op_sel_hi:[1,0]
	v_pk_mul_f16 v44, 0xbacd3722, v54 op_sel_hi:[1,0]
	v_perm_b32 v80, v9, v9, 0x7060302
	v_pack_b32_f16 v25, v49, v49
	v_add_f16_e32 v18, v19, v18
	v_pack_b32_f16 v72, v72, v72
	v_pack_b32_f16 v19, v77, v77
	v_pk_mul_f16 v77, 0x37222de8, v48 op_sel_hi:[1,0]
	v_pack_b32_f16 v73, v73, v73
	v_bfi_b32 v18, 0xffff, v18, v79
	v_pk_mul_f16 v79, 0xb4613b76, v54 op_sel_hi:[1,0]
	v_pk_mul_f16 v54, 0x2de8bbdd, v55 op_sel_hi:[1,0]
	v_pk_mul_f16 v55, 0xbb29b964, v69
	v_pk_mul_f16 v21, 0xbacd3722, v53 op_sel_hi:[1,0]
	v_pk_add_f16 v17, v18, v17
	v_pk_mul_f16 v90, 0xb8d2bbdd, v49 op_sel_hi:[1,0]
	v_add_f16_e32 v43, v77, v43
	v_pack_b32_f16 v74, v74, v74
	v_pk_mul_f16 v89, 0xbbdd3b76, v52 op_sel_hi:[1,0]
	v_pk_add_f16 v17, v17, v9
	v_pk_add_f16 v21, v21, v76
	v_add_f16_sdwa v9, v9, v43 dst_sel:DWORD dst_unused:UNUSED_PAD src0_sel:WORD_1 src1_sel:DWORD
	v_pack_b32_f16 v22, v58, v58
	v_pack_b32_f16 v75, v75, v75
	v_pk_add_f16 v15, v17, v15
	v_pk_add_f16 v17, v84, v64
	v_bfi_b32 v11, 0xffff, v11, v21
	v_pk_add_f16 v21, v89, v70
	v_pk_mul_f16 v48, 0xb8d2b461, v48 op_sel_hi:[1,0]
	v_pk_add_f16 v14, v15, v14
	v_bfi_b32 v15, 0xffff, v16, v17
	v_pk_add_f16 v16, v85, v67
	v_bfi_b32 v10, 0xffff, v10, v21
	v_pack_b32_f16 v87, v53, v53
	v_pk_mul_f16 v18, 0x3b76bacd, v58 op_sel_hi:[1,0]
	v_pk_add_f16 v14, v14, v15
	v_bfi_b32 v13, 0xffff, v13, v16
	v_pk_add_f16 v15, v86, v66
	v_pk_fma_f16 v16, 0x372239e9, v78, v55
	v_pk_mul_f16 v55, 0xba62bbf7, v68
	v_pk_mul_f16 v49, 0xb461bacd, v49 op_sel_hi:[1,0]
	v_pk_add_f16 v13, v13, v14
	v_bfi_b32 v12, 0xffff, v12, v15
	v_pk_add_f16 v14, v80, v16
	v_pk_fma_f16 v15, 0xb8d22de8, v25, v55
	v_pk_mul_f16 v16, 0x31e1ba62, v72
	v_pk_mul_f16 v81, 0x2de8b8d2, v53 op_sel_hi:[1,0]
	v_pk_add_f16 v12, v12, v13
	v_pk_mul_f16 v17, 0x39e92de8, v58 op_sel_hi:[1,0]
	v_pk_add_f16 v13, v14, v15
	v_pk_fma_f16 v14, 0xbbddb8d2, v82, v16
	v_pk_mul_f16 v15, 0x3bb2b1e1, v23
	v_add_f16_e32 v16, v90, v45
	v_pk_add_f16 v11, v11, v12
	v_pk_mul_f16 v23, 0x39643a62, v23
	v_pk_add_f16 v13, v13, v14
	v_pk_fma_f16 v14, 0xb461bbdd, v83, v15
	v_pk_mul_f16 v15, 0x39643836, v73
	v_add_f16_e32 v9, v9, v16
	v_add_f16_e32 v16, v62, v47
	v_pk_add_f16 v17, v17, v39
	v_pk_add_f16 v13, v13, v14
	v_pk_fma_f16 v14, 0x39e9bacd, v71, v15
	v_pk_mul_f16 v15, 0xb5c83bb2, v74
	v_add_f16_e32 v9, v9, v16
	v_add_f16_e32 v16, v79, v56
	v_pack_b32_f16 v88, v52, v52
	v_pk_add_f16 v12, v13, v14
	v_pk_fma_f16 v14, 0x3b76b461, v22, v15
	v_add_f16_e32 v15, v91, v60
	v_add_f16_e32 v9, v9, v16
	v_pk_add_f16 v13, v10, v11
	v_pk_add_f16 v10, v48, v46
	;; [unrolled: 1-line block ×3, first 2 shown]
	v_pk_mul_f16 v12, 0xbbf73b29, v75
	v_add_f16_e32 v9, v9, v15
	v_add_f16_e32 v14, v18, v59
	v_pk_add_f16 v10, v80, v10
	v_pk_add_f16 v15, v49, v50
	v_pk_fma_f16 v12, 0x2de83722, v87, v12
	v_pk_mul_f16 v18, 0x35c83b29, v68
	v_add_f16_e32 v9, v14, v9
	v_add_f16_e32 v14, v81, v61
	v_pk_add_f16 v10, v10, v15
	v_pk_add_f16 v15, v24, v51
	;; [unrolled: 1-line block ×3, first 2 shown]
	v_pk_mul_f16 v12, 0xb1e1b836, v69
	v_add_f16_e32 v9, v14, v9
	v_pk_add_f16 v14, v44, v42
	v_pk_add_f16 v10, v10, v15
	v_pk_mul_f16 v24, 0xb836bbf7, v72
	v_pk_fma_f16 v15, 0xbbddbacd, v78, v12 neg_lo:[0,0,1] neg_hi:[0,0,1]
	v_pk_fma_f16 v12, 0xbbddbacd, v78, v12
	v_pk_mul_f16 v53, 0xbbdd3b76, v53 op_sel_hi:[1,0]
	v_pk_add_f16 v10, v10, v14
	v_pk_mul_f16 v16, 0xb83635c8, v19
	v_pk_add_f16 v14, v80, v15
	v_pk_fma_f16 v15, 0x3b763722, v25, v18 neg_lo:[0,0,1] neg_hi:[0,0,1]
	v_pk_add_f16 v12, v80, v12
	v_pk_fma_f16 v18, 0x3b763722, v25, v18
	v_pk_add_f16 v25, v54, v40
	v_pk_mul_f16 v19, 0x3bf7bbb2, v19
	v_pk_add_f16 v14, v14, v15
	v_pk_fma_f16 v15, 0xbacd2de8, v82, v24 neg_lo:[0,0,1] neg_hi:[0,0,1]
	v_pk_add_f16 v12, v12, v18
	v_pk_fma_f16 v18, 0xbacd2de8, v82, v24
	v_pk_mul_f16 v24, 0xba62b5c8, v73
	v_pk_add_f16 v10, v10, v25
	v_pk_add_f16 v14, v14, v15
	v_pk_fma_f16 v15, 0x39e9b8d2, v83, v23 neg_lo:[0,0,1] neg_hi:[0,0,1]
	v_pk_add_f16 v12, v12, v18
	v_pk_fma_f16 v18, 0x39e9b8d2, v83, v23
	v_pk_mul_f16 v23, 0x3b29b1e1, v74
	v_pk_add_f16 v10, v17, v10
	v_pk_add_f16 v14, v14, v15
	v_pk_fma_f16 v15, 0xb8d23b76, v71, v24 neg_lo:[0,0,1] neg_hi:[0,0,1]
	v_pk_add_f16 v12, v12, v18
	v_pk_fma_f16 v18, 0xb8d23b76, v71, v24
	v_pk_mul_f16 v17, 0xbbb23964, v75
	v_pk_mul_f16 v63, 0xbacd39e9, v52 op_sel_hi:[1,0]
	v_pk_add_f16 v14, v14, v15
	v_pk_fma_f16 v15, 0x3722bbdd, v22, v23 neg_lo:[0,0,1] neg_hi:[0,0,1]
	v_pk_add_f16 v12, v12, v18
	v_pk_fma_f16 v18, 0x3722bbdd, v22, v23
	v_pk_mul_f16 v52, 0x3722b8d2, v52 op_sel_hi:[1,0]
	v_pk_fma_f16 v16, 0xbacd3b76, v88, v16
	v_pk_add_f16 v14, v15, v14
	v_pk_fma_f16 v15, 0xb46139e9, v87, v17 neg_lo:[0,0,1] neg_hi:[0,0,1]
	v_pk_add_f16 v22, v53, v38
	v_pk_add_f16 v12, v18, v12
	v_pk_fma_f16 v17, 0xb46139e9, v87, v17
	v_pk_fma_f16 v18, 0x2de8b461, v88, v19 neg_lo:[0,0,1] neg_hi:[0,0,1]
	v_pk_add_f16 v15, v15, v14
	v_add_f16_e32 v21, v63, v57
	v_pk_add_f16 v10, v22, v10
	v_pk_add_f16 v22, v52, v41
	;; [unrolled: 1-line block ×3, first 2 shown]
	v_pk_fma_f16 v17, 0x2de8b461, v88, v19
	v_pk_add_f16 v14, v16, v11
	v_pk_add_f16 v11, v18, v15
	v_lshl_add_u32 v16, v6, 5, v20
	v_add_f16_e32 v15, v21, v9
	v_pk_add_f16 v9, v22, v10
	v_pk_add_f16 v10, v17, v12
	v_alignbit_b32 v11, v11, v11, 16
	v_alignbit_b32 v12, v8, v8, 16
	ds_write_b64 v16, v[13:14]
	ds_write_b16 v16, v15 offset:8
	ds_write_b128 v16, v[9:12] offset:10
	ds_write_b64 v16, v[4:5] offset:26
.LBB0_15:
	s_or_b32 exec_lo, exec_lo, s1
	v_and_b32_e32 v19, 0xff, v6
	v_add_nc_u32_e32 v9, 0xaa, v6
	v_mov_b32_e32 v21, 0xf0f1
	v_add_nc_u32_e32 v24, 0x154, v6
	v_mov_b32_e32 v39, 3
	v_mul_lo_u16 v10, 0xf1, v19
	s_waitcnt lgkmcnt(0)
	v_mul_u32_u24_sdwa v23, v9, v21 dst_sel:DWORD dst_unused:UNUSED_PAD src0_sel:WORD_0 src1_sel:DWORD
	v_mul_u32_u24_sdwa v38, v24, v21 dst_sel:DWORD dst_unused:UNUSED_PAD src0_sel:WORD_0 src1_sel:DWORD
	s_barrier
	v_lshrrev_b16 v22, 12, v10
	buffer_gl0_inv
	v_lshrrev_b32_e32 v25, 20, v23
	v_lshrrev_b32_e32 v41, 20, v38
	v_add_nc_u32_e32 v44, 0x1fe, v6
	v_mul_lo_u16 v10, v22, 17
	v_mul_lo_u16 v19, 0x79, v19
	v_mov_b32_e32 v57, 0x88
	v_lshrrev_b32_e32 v59, 22, v23
	v_mul_u32_u24_sdwa v21, v44, v21 dst_sel:DWORD dst_unused:UNUSED_PAD src0_sel:WORD_0 src1_sel:DWORD
	v_sub_nc_u16 v40, v6, v10
	v_mul_lo_u16 v10, v25, 17
	v_lshrrev_b16 v19, 13, v19
	v_lshrrev_b32_e32 v38, 22, v38
	v_mov_b32_e32 v58, 1
	v_mul_u32_u24_sdwa v11, v40, v39 dst_sel:DWORD dst_unused:UNUSED_PAD src0_sel:BYTE_0 src1_sel:DWORD
	v_sub_nc_u16 v42, v9, v10
	v_mul_lo_u16 v10, v41, 17
	v_lshrrev_b32_e32 v60, 22, v21
	v_mul_u32_u24_sdwa v21, v22, v57 dst_sel:DWORD dst_unused:UNUSED_PAD src0_sel:WORD_0 src1_sel:DWORD
	v_lshlrev_b32_e32 v11, 2, v11
	v_mul_u32_u24_sdwa v13, v42, v39 dst_sel:DWORD dst_unused:UNUSED_PAD src0_sel:WORD_0 src1_sel:DWORD
	v_sub_nc_u16 v43, v24, v10
	v_mul_u32_u24_e32 v22, 0x88, v25
	v_mul_lo_u16 v23, 0x44, v19
	global_load_dwordx3 v[10:12], v11, s[8:9]
	v_lshlrev_b32_e32 v13, 2, v13
	v_mul_u32_u24_sdwa v16, v43, v39 dst_sel:DWORD dst_unused:UNUSED_PAD src0_sel:WORD_0 src1_sel:DWORD
	v_mul_lo_u16 v25, 0x44, v59
	v_mul_lo_u16 v57, 0x44, v38
	v_mul_u32_u24_e32 v41, 0x88, v41
	global_load_dwordx3 v[13:15], v13, s[8:9]
	v_lshlrev_b32_e32 v16, 2, v16
	v_sub_nc_u16 v62, v6, v23
	v_sub_nc_u16 v63, v9, v25
	v_lshlrev_b32_sdwa v23, v58, v40 dst_sel:DWORD dst_unused:UNUSED_PAD src0_sel:DWORD src1_sel:BYTE_0
	v_lshlrev_b32_sdwa v25, v58, v43 dst_sel:DWORD dst_unused:UNUSED_PAD src0_sel:DWORD src1_sel:WORD_0
	global_load_dwordx3 v[16:18], v16, s[8:9]
	ds_read_u16 v45, v20
	ds_read_u16 v46, v20 offset:340
	ds_read_u16 v47, v20 offset:1360
	;; [unrolled: 1-line block ×11, first 2 shown]
	v_sub_nc_u16 v57, v24, v57
	v_lshlrev_b32_sdwa v24, v58, v42 dst_sel:DWORD dst_unused:UNUSED_PAD src0_sel:DWORD src1_sel:WORD_0
	v_add3_u32 v21, 0, v21, v23
	v_add3_u32 v23, 0, v41, v25
	v_mul_lo_u16 v61, 0x44, v60
	s_waitcnt vmcnt(0) lgkmcnt(0)
	v_add3_u32 v22, 0, v22, v24
	s_barrier
	buffer_gl0_inv
	v_lshlrev_b32_sdwa v40, v39, v62 dst_sel:DWORD dst_unused:UNUSED_PAD src0_sel:DWORD src1_sel:BYTE_0
	v_lshlrev_b32_sdwa v42, v39, v63 dst_sel:DWORD dst_unused:UNUSED_PAD src0_sel:DWORD src1_sel:WORD_0
	v_cmp_gt_u32_e64 s0, 34, v6
	v_mul_f16_sdwa v25, v36, v10 dst_sel:DWORD dst_unused:UNUSED_PAD src0_sel:DWORD src1_sel:WORD_1
	v_mul_f16_sdwa v43, v35, v11 dst_sel:DWORD dst_unused:UNUSED_PAD src0_sel:DWORD src1_sel:WORD_1
	;; [unrolled: 1-line block ×18, first 2 shown]
	v_fmac_f16_e32 v25, v51, v10
	v_fmac_f16_e32 v43, v49, v11
	;; [unrolled: 1-line block ×3, first 2 shown]
	v_fma_f16 v24, v36, v10, -v24
	v_fma_f16 v10, v35, v11, -v41
	;; [unrolled: 1-line block ×4, first 2 shown]
	v_fmac_f16_e32 v67, v47, v13
	v_fma_f16 v13, v29, v14, -v68
	v_fmac_f16_e32 v69, v48, v14
	v_fma_f16 v14, v33, v15, -v70
	;; [unrolled: 2-line block ×5, first 2 shown]
	v_fmac_f16_e32 v77, v54, v18
	v_sub_f16_e32 v18, v45, v43
	v_sub_f16_e32 v29, v25, v65
	;; [unrolled: 1-line block ×12, first 2 shown]
	v_fma_f16 v34, v45, 2.0, -v18
	v_fma_f16 v25, v25, 2.0, -v29
	;; [unrolled: 1-line block ×10, first 2 shown]
	v_sub_f16_e32 v29, v10, v29
	v_fma_f16 v37, v52, 2.0, -v32
	v_fma_f16 v41, v73, 2.0, -v33
	v_sub_f16_e32 v25, v34, v25
	v_add_f16_e32 v11, v18, v11
	v_sub_f16_e32 v24, v27, v24
	v_sub_f16_e32 v12, v26, v12
	;; [unrolled: 1-line block ×6, first 2 shown]
	v_add_f16_e32 v14, v30, v14
	v_add_f16_e32 v17, v32, v17
	v_fma_f16 v10, v10, 2.0, -v29
	v_sub_f16_e32 v41, v37, v41
	ds_write_b16 v21, v29 offset:102
	v_fma_f16 v29, v34, 2.0, -v25
	v_fma_f16 v18, v18, 2.0, -v11
	;; [unrolled: 1-line block ×11, first 2 shown]
	ds_write_b16 v21, v10 offset:34
	ds_write_b16 v21, v24 offset:68
	ds_write_b16 v21, v27
	ds_write_b16 v22, v26
	ds_write_b16 v22, v13 offset:34
	ds_write_b16 v22, v12 offset:68
	;; [unrolled: 1-line block ×3, first 2 shown]
	ds_write_b16 v23, v28
	ds_write_b16 v23, v16 offset:34
	ds_write_b16 v23, v15 offset:68
	;; [unrolled: 1-line block ×3, first 2 shown]
	s_waitcnt lgkmcnt(0)
	s_barrier
	buffer_gl0_inv
	ds_read_u16 v16, v20
	ds_read_u16 v27, v20 offset:340
	ds_read_u16 v28, v20 offset:680
	;; [unrolled: 1-line block ×11, first 2 shown]
	s_waitcnt lgkmcnt(0)
	s_barrier
	buffer_gl0_inv
	ds_write_b16 v21, v29
	ds_write_b16 v21, v18 offset:34
	ds_write_b16 v21, v25 offset:68
	ds_write_b16 v21, v11 offset:102
	ds_write_b16 v22, v34
	ds_write_b16 v22, v30 offset:34
	ds_write_b16 v22, v36 offset:68
	ds_write_b16 v22, v14 offset:102
	;; [unrolled: 4-line block ×3, first 2 shown]
	v_sub_nc_u16 v11, v44, v61
	v_lshlrev_b32_sdwa v12, v39, v57 dst_sel:DWORD dst_unused:UNUSED_PAD src0_sel:DWORD src1_sel:WORD_0
	s_waitcnt lgkmcnt(0)
	s_barrier
	buffer_gl0_inv
	s_clause 0x1
	global_load_dwordx2 v[14:15], v40, s[8:9] offset:204
	global_load_dwordx2 v[21:22], v42, s[8:9] offset:204
	v_lshlrev_b32_sdwa v13, v39, v11 dst_sel:DWORD dst_unused:UNUSED_PAD src0_sel:DWORD src1_sel:WORD_0
	s_clause 0x1
	global_load_dwordx2 v[23:24], v12, s[8:9] offset:204
	global_load_dwordx2 v[25:26], v13, s[8:9] offset:204
	v_mov_b32_e32 v12, 0x198
	v_mul_u32_u24_e32 v17, 0x198, v38
	v_lshlrev_b32_sdwa v18, v58, v62 dst_sel:DWORD dst_unused:UNUSED_PAD src0_sel:DWORD src1_sel:BYTE_0
	v_lshlrev_b32_sdwa v30, v58, v57 dst_sel:DWORD dst_unused:UNUSED_PAD src0_sel:DWORD src1_sel:WORD_0
	ds_read_u16 v38, v20 offset:1360
	ds_read_u16 v40, v20 offset:1700
	v_mul_u32_u24_sdwa v12, v19, v12 dst_sel:DWORD dst_unused:UNUSED_PAD src0_sel:WORD_0 src1_sel:DWORD
	ds_read_u16 v39, v20 offset:2720
	ds_read_u16 v41, v20 offset:3060
	v_mul_u32_u24_e32 v29, 0x198, v60
	v_lshlrev_b32_sdwa v11, v58, v11 dst_sel:DWORD dst_unused:UNUSED_PAD src0_sel:DWORD src1_sel:WORD_0
	v_add3_u32 v31, 0, v12, v18
	v_add3_u32 v18, 0, v17, v30
	ds_read_u16 v30, v20 offset:2040
	v_mul_u32_u24_e32 v13, 0x198, v59
	v_add3_u32 v17, 0, v29, v11
	ds_read_u16 v11, v20 offset:3400
	ds_read_u16 v29, v20 offset:2380
	;; [unrolled: 1-line block ×3, first 2 shown]
	ds_read_u16 v34, v20
	ds_read_u16 v33, v20 offset:340
	ds_read_u16 v32, v20 offset:680
	;; [unrolled: 1-line block ×3, first 2 shown]
	v_lshlrev_b32_sdwa v19, v58, v63 dst_sel:DWORD dst_unused:UNUSED_PAD src0_sel:DWORD src1_sel:WORD_0
	s_waitcnt vmcnt(0) lgkmcnt(0)
	s_barrier
	buffer_gl0_inv
	v_add3_u32 v19, 0, v13, v19
	v_mul_f16_sdwa v48, v38, v14 dst_sel:DWORD dst_unused:UNUSED_PAD src0_sel:DWORD src1_sel:WORD_1
	v_mul_f16_sdwa v56, v39, v15 dst_sel:DWORD dst_unused:UNUSED_PAD src0_sel:DWORD src1_sel:WORD_1
	;; [unrolled: 1-line block ×12, first 2 shown]
	v_fma_f16 v48, v47, v14, -v48
	v_fma_f16 v49, v49, v15, -v56
	v_mul_f16_sdwa v36, v50, v23 dst_sel:DWORD dst_unused:UNUSED_PAD src0_sel:DWORD src1_sel:WORD_1
	v_mul_f16_sdwa v13, v53, v24 dst_sel:DWORD dst_unused:UNUSED_PAD src0_sel:DWORD src1_sel:WORD_1
	;; [unrolled: 1-line block ×3, first 2 shown]
	v_fmac_f16_e32 v45, v38, v14
	v_fma_f16 v46, v46, v21, -v57
	v_fmac_f16_e32 v44, v40, v21
	v_fma_f16 v47, v52, v22, -v58
	v_fma_f16 v38, v50, v23, -v59
	;; [unrolled: 1-line block ×3, first 2 shown]
	v_mul_f16_sdwa v35, v54, v26 dst_sel:DWORD dst_unused:UNUSED_PAD src0_sel:DWORD src1_sel:WORD_1
	v_fmac_f16_e32 v42, v39, v15
	v_fmac_f16_e32 v43, v41, v22
	v_fma_f16 v39, v51, v25, -v61
	v_fma_f16 v41, v54, v26, -v62
	v_add_f16_e32 v14, v48, v49
	v_fmac_f16_e32 v36, v30, v23
	v_fmac_f16_e32 v13, v11, v24
	;; [unrolled: 1-line block ×3, first 2 shown]
	v_add_f16_e32 v22, v46, v47
	v_add_f16_e32 v25, v38, v40
	v_fmac_f16_e32 v35, v55, v26
	v_add_f16_e32 v11, v16, v48
	v_add_f16_e32 v30, v39, v41
	v_sub_f16_e32 v15, v45, v42
	v_add_f16_e32 v21, v27, v46
	v_add_f16_e32 v24, v28, v38
	v_fmac_f16_e32 v16, -0.5, v14
	v_sub_f16_e32 v23, v44, v43
	v_sub_f16_e32 v26, v36, v13
	v_add_f16_e32 v29, v10, v39
	v_fmac_f16_e32 v27, -0.5, v22
	v_fmac_f16_e32 v28, -0.5, v25
	v_sub_f16_e32 v50, v37, v35
	v_add_f16_e32 v51, v11, v49
	v_fmac_f16_e32 v10, -0.5, v30
	v_add_f16_e32 v14, v21, v47
	v_add_f16_e32 v21, v24, v40
	v_fmamk_f16 v24, v15, 0x3aee, v16
	v_fmac_f16_e32 v16, 0xbaee, v15
	v_add_f16_e32 v22, v29, v41
	v_fmamk_f16 v15, v23, 0x3aee, v27
	v_fmac_f16_e32 v27, 0xbaee, v23
	v_fmamk_f16 v23, v26, 0x3aee, v28
	v_fmac_f16_e32 v28, 0xbaee, v26
	;; [unrolled: 2-line block ×3, first 2 shown]
	ds_write_b16 v31, v51
	ds_write_b16 v31, v24 offset:136
	ds_write_b16 v31, v16 offset:272
	ds_write_b16 v19, v14
	ds_write_b16 v19, v15 offset:136
	ds_write_b16 v19, v27 offset:272
	ds_write_b16 v18, v21
	ds_write_b16 v18, v23 offset:136
	ds_write_b16 v18, v28 offset:272
	ds_write_b16 v17, v22
	ds_write_b16 v17, v11 offset:136
	ds_write_b16 v17, v10 offset:272
	s_waitcnt lgkmcnt(0)
	s_barrier
	buffer_gl0_inv
	ds_read_u16 v21, v20
	ds_read_u16 v22, v20 offset:408
	ds_read_u16 v24, v20 offset:816
	;; [unrolled: 1-line block ×9, first 2 shown]
                                        ; implicit-def: $vgpr14
                                        ; implicit-def: $vgpr16
                                        ; implicit-def: $vgpr15
	s_and_saveexec_b32 s1, s0
	s_cbranch_execz .LBB0_17
; %bb.16:
	ds_read_u16 v0, v20 offset:1564
	ds_read_u16 v1, v20 offset:2380
	;; [unrolled: 1-line block ×7, first 2 shown]
	s_waitcnt lgkmcnt(6)
	ds_read_u16_d16_hi v0, v20 offset:1972
	s_waitcnt lgkmcnt(6)
	ds_read_u16_d16_hi v1, v20 offset:2788
	ds_read_u16 v16, v20 offset:3604
.LBB0_17:
	s_or_b32 exec_lo, exec_lo, s1
	v_sub_f16_e32 v48, v48, v49
	v_add_f16_e32 v49, v44, v43
	v_add_f16_e32 v44, v33, v44
	v_sub_f16_e32 v46, v46, v47
	v_add_f16_e32 v50, v45, v42
	v_add_f16_e32 v45, v34, v45
	v_fmac_f16_e32 v33, -0.5, v49
	v_add_f16_e32 v43, v44, v43
	v_add_f16_e32 v44, v36, v13
	v_fmac_f16_e32 v34, -0.5, v50
	v_add_f16_e32 v36, v32, v36
	v_fmamk_f16 v47, v46, 0xbaee, v33
	v_fmac_f16_e32 v33, 0x3aee, v46
	v_add_f16_e32 v46, v37, v35
	v_fmac_f16_e32 v32, -0.5, v44
	v_sub_f16_e32 v38, v38, v40
	v_add_f16_e32 v37, v12, v37
	v_add_f16_e32 v42, v45, v42
	v_fmac_f16_e32 v12, -0.5, v46
	v_sub_f16_e32 v39, v39, v41
	v_fmamk_f16 v45, v48, 0xbaee, v34
	v_fmac_f16_e32 v34, 0x3aee, v48
	v_add_f16_e32 v36, v36, v13
	v_fmamk_f16 v40, v38, 0xbaee, v32
	v_fmac_f16_e32 v32, 0x3aee, v38
	v_add_f16_e32 v35, v37, v35
	v_fmamk_f16 v13, v39, 0xbaee, v12
	v_fmac_f16_e32 v12, 0x3aee, v39
	s_waitcnt lgkmcnt(0)
	s_barrier
	buffer_gl0_inv
	ds_write_b16 v31, v42
	ds_write_b16 v31, v45 offset:136
	ds_write_b16 v31, v34 offset:272
	ds_write_b16 v19, v43
	ds_write_b16 v19, v47 offset:136
	ds_write_b16 v19, v33 offset:272
	;; [unrolled: 3-line block ×4, first 2 shown]
	s_waitcnt lgkmcnt(0)
	s_barrier
	buffer_gl0_inv
	ds_read_u16 v31, v20
	ds_read_u16 v32, v20 offset:408
	ds_read_u16 v37, v20 offset:816
	ds_read_u16 v33, v20 offset:1224
	ds_read_u16 v38, v20 offset:1632
	ds_read_u16 v34, v20 offset:2040
	ds_read_u16 v39, v20 offset:2448
	ds_read_u16 v35, v20 offset:2856
	ds_read_u16 v40, v20 offset:3264
	ds_read_u16 v36, v20 offset:3672
                                        ; implicit-def: $vgpr17
                                        ; implicit-def: $vgpr19
                                        ; implicit-def: $vgpr18
	s_and_saveexec_b32 s1, s0
	s_cbranch_execz .LBB0_19
; %bb.18:
	ds_read_u16 v4, v20 offset:1564
	ds_read_u16 v5, v20 offset:2380
	;; [unrolled: 1-line block ×7, first 2 shown]
	s_waitcnt lgkmcnt(6)
	ds_read_u16_d16_hi v4, v20 offset:1972
	s_waitcnt lgkmcnt(6)
	ds_read_u16_d16_hi v5, v20 offset:2788
	ds_read_u16 v19, v20 offset:3604
.LBB0_19:
	s_or_b32 exec_lo, exec_lo, s1
	s_and_saveexec_b32 s1, vcc_lo
	s_cbranch_execz .LBB0_22
; %bb.20:
	v_mul_u32_u24_e32 v20, 9, v6
	v_mad_u64_u32 v[49:50], null, s2, v6, 0
	v_add_nc_u32_e32 v71, 0xcc, v6
	v_add_nc_u32_e32 v72, 0x198, v6
	v_lshlrev_b32_e32 v20, 2, v20
	v_add_nc_u32_e32 v73, 0x264, v6
	v_add_nc_u32_e32 v74, 0x330, v6
	;; [unrolled: 1-line block ×4, first 2 shown]
	s_clause 0x2
	global_load_dwordx4 v[41:44], v20, s[8:9] offset:748
	global_load_dwordx4 v[45:48], v20, s[8:9] offset:764
	global_load_dword v79, v20, s[8:9] offset:780
	v_mad_u64_u32 v[51:52], null, s2, v71, 0
	v_add_nc_u32_e32 v77, 0x594, v6
	v_mad_u64_u32 v[53:54], null, s2, v72, 0
	v_add_nc_u32_e32 v78, 0x660, v6
	v_add_nc_u32_e32 v80, 0x72c, v6
	v_mad_u64_u32 v[55:56], null, s2, v73, 0
	v_mad_u64_u32 v[57:58], null, s2, v74, 0
	v_mov_b32_e32 v20, v50
	v_mad_u64_u32 v[59:60], null, s2, v75, 0
	v_mad_u64_u32 v[61:62], null, s2, v76, 0
	;; [unrolled: 1-line block ×6, first 2 shown]
	v_mov_b32_e32 v20, v52
	v_mov_b32_e32 v50, v54
	;; [unrolled: 1-line block ×6, first 2 shown]
	v_mad_u64_u32 v[70:71], null, s3, v71, v[20:21]
	v_mov_b32_e32 v60, v64
	v_mad_u64_u32 v[71:72], null, s3, v72, v[50:51]
	v_mov_b32_e32 v62, v66
	v_mov_b32_e32 v64, v68
	v_mad_u64_u32 v[72:73], null, s3, v73, v[52:53]
	v_mad_u64_u32 v[73:74], null, s3, v74, v[54:55]
	v_mad_u64_u32 v[74:75], null, s3, v75, v[56:57]
	v_mad_u64_u32 v[75:76], null, s3, v76, v[58:59]
	v_mad_u64_u32 v[76:77], null, s3, v77, v[60:61]
	v_mov_b32_e32 v50, v69
	v_mad_u64_u32 v[68:69], null, s3, v78, v[62:63]
	v_mad_u64_u32 v[77:78], null, s3, v80, v[64:65]
	v_mov_b32_e32 v52, v70
	v_mov_b32_e32 v54, v71
	;; [unrolled: 1-line block ×9, first 2 shown]
	v_lshlrev_b64 v[49:50], 2, v[49:50]
	v_add_co_u32 v2, vcc_lo, s12, v2
	v_add_co_ci_u32_e32 v3, vcc_lo, s13, v3, vcc_lo
	v_lshlrev_b64 v[51:52], 2, v[51:52]
	v_lshlrev_b64 v[53:54], 2, v[53:54]
	v_add_co_u32 v49, vcc_lo, v2, v49
	v_add_co_ci_u32_e32 v50, vcc_lo, v3, v50, vcc_lo
	v_lshlrev_b64 v[55:56], 2, v[55:56]
	v_add_co_u32 v51, vcc_lo, v2, v51
	v_add_co_ci_u32_e32 v52, vcc_lo, v3, v52, vcc_lo
	;; [unrolled: 3-line block ×8, first 2 shown]
	v_add_co_u32 v65, vcc_lo, v2, v65
	v_add_co_ci_u32_e32 v66, vcc_lo, v3, v66, vcc_lo
	v_add_co_u32 v67, vcc_lo, v2, v67
	v_add_co_ci_u32_e32 v68, vcc_lo, v3, v68, vcc_lo
	s_waitcnt vmcnt(2)
	v_mul_f16_sdwa v20, v24, v42 dst_sel:DWORD dst_unused:UNUSED_PAD src0_sel:DWORD src1_sel:WORD_1
	v_mul_f16_sdwa v69, v28, v44 dst_sel:DWORD dst_unused:UNUSED_PAD src0_sel:DWORD src1_sel:WORD_1
	s_waitcnt vmcnt(1)
	v_mul_f16_sdwa v70, v30, v48 dst_sel:DWORD dst_unused:UNUSED_PAD src0_sel:DWORD src1_sel:WORD_1
	v_mul_f16_sdwa v71, v29, v46 dst_sel:DWORD dst_unused:UNUSED_PAD src0_sel:DWORD src1_sel:WORD_1
	s_waitcnt lgkmcnt(6)
	v_mul_f16_sdwa v76, v33, v43 dst_sel:DWORD dst_unused:UNUSED_PAD src0_sel:DWORD src1_sel:WORD_1
	s_waitcnt lgkmcnt(4)
	v_mul_f16_sdwa v77, v34, v45 dst_sel:DWORD dst_unused:UNUSED_PAD src0_sel:DWORD src1_sel:WORD_1
	s_waitcnt vmcnt(0) lgkmcnt(0)
	v_mul_f16_sdwa v78, v36, v79 dst_sel:DWORD dst_unused:UNUSED_PAD src0_sel:DWORD src1_sel:WORD_1
	v_mul_f16_sdwa v80, v35, v47 dst_sel:DWORD dst_unused:UNUSED_PAD src0_sel:DWORD src1_sel:WORD_1
	;; [unrolled: 1-line block ×12, first 2 shown]
	v_fmac_f16_e32 v20, v37, v42
	v_fmac_f16_e32 v69, v38, v44
	;; [unrolled: 1-line block ×4, first 2 shown]
	v_fma_f16 v23, v23, v43, -v76
	v_fma_f16 v25, v25, v45, -v77
	;; [unrolled: 1-line block ×4, first 2 shown]
	v_fmac_f16_e32 v82, v33, v43
	v_fmac_f16_e32 v83, v36, v79
	;; [unrolled: 1-line block ×4, first 2 shown]
	v_fma_f16 v28, v28, v44, -v72
	v_fma_f16 v29, v29, v46, -v73
	v_fma_f16 v24, v24, v42, -v74
	v_fma_f16 v30, v30, v48, -v75
	v_fma_f16 v22, v22, v41, -v81
	v_fmac_f16_e32 v86, v32, v41
	v_sub_f16_e32 v32, v20, v69
	v_sub_f16_e32 v33, v70, v71
	v_add_f16_e32 v36, v69, v71
	v_sub_f16_e32 v37, v23, v25
	v_sub_f16_e32 v38, v27, v26
	v_add_f16_e32 v39, v25, v26
	;; [unrolled: 3-line block ×4, first 2 shown]
	v_add_f16_e32 v78, v82, v83
	v_sub_f16_e32 v35, v24, v30
	v_sub_f16_e32 v40, v82, v83
	;; [unrolled: 1-line block ×9, first 2 shown]
	v_add_f16_e32 v79, v31, v20
	v_add_f16_e32 v80, v82, v86
	v_sub_f16_e32 v81, v24, v28
	v_add_f16_e32 v87, v28, v29
	v_sub_f16_e32 v89, v28, v24
	v_add_f16_e32 v91, v24, v30
	v_add_f16_e32 v24, v21, v24
	;; [unrolled: 1-line block ×4, first 2 shown]
	v_fma_f16 v33, -0.5, v36, v31
	v_add_f16_e32 v36, v37, v38
	v_fma_f16 v37, -0.5, v39, v22
	v_add_f16_e32 v38, v42, v43
	;; [unrolled: 2-line block ×3, first 2 shown]
	v_fma_f16 v22, -0.5, v75, v22
	v_fma_f16 v47, -0.5, v78, v86
	v_sub_f16_e32 v34, v28, v29
	v_add_f16_e32 v72, v20, v70
	v_sub_f16_e32 v88, v69, v71
	v_add_f16_e32 v43, v73, v74
	v_add_f16_e32 v46, v76, v77
	;; [unrolled: 1-line block ×4, first 2 shown]
	v_fma_f16 v73, -0.5, v87, v21
	v_fma_f16 v21, -0.5, v91, v21
	v_add_f16_e32 v24, v24, v28
	v_add_f16_e32 v23, v25, v23
	v_fmamk_f16 v28, v40, 0xbb9c, v37
	v_fmamk_f16 v75, v45, 0x3b9c, v39
	;; [unrolled: 1-line block ×4, first 2 shown]
	v_fmac_f16_e32 v22, 0xbb9c, v41
	v_fmac_f16_e32 v39, 0xbb9c, v45
	;; [unrolled: 1-line block ×4, first 2 shown]
	v_sub_f16_e32 v20, v20, v70
	v_fma_f16 v31, -0.5, v72, v31
	v_fmamk_f16 v25, v35, 0x3b9c, v33
	v_fmac_f16_e32 v33, 0xbb9c, v35
	v_add_f16_e32 v48, v48, v71
	v_add_f16_e32 v69, v85, v69
	v_fmamk_f16 v79, v88, 0x3b9c, v21
	v_fmac_f16_e32 v21, 0xbb9c, v88
	v_add_f16_e32 v24, v24, v29
	v_add_f16_e32 v23, v26, v23
	v_fmac_f16_e32 v75, 0x38b4, v44
	v_fmac_f16_e32 v78, 0x38b4, v45
	;; [unrolled: 1-line block ×8, first 2 shown]
	v_sub_f16_e32 v82, v30, v29
	v_sub_f16_e32 v90, v29, v30
	v_fmamk_f16 v76, v34, 0xbb9c, v31
	v_fmac_f16_e32 v31, 0x3b9c, v34
	v_fmamk_f16 v71, v20, 0xbb9c, v73
	v_fmac_f16_e32 v73, 0x3b9c, v20
	v_fmac_f16_e32 v25, 0x38b4, v34
	;; [unrolled: 1-line block ×3, first 2 shown]
	v_add_f16_e32 v26, v70, v48
	v_add_f16_e32 v29, v83, v69
	v_fmac_f16_e32 v79, 0xb8b4, v20
	v_fmac_f16_e32 v21, 0x38b4, v20
	v_add_f16_e32 v20, v30, v24
	v_add_f16_e32 v23, v27, v23
	v_fmac_f16_e32 v75, 0x34f2, v38
	v_fmac_f16_e32 v78, 0x34f2, v46
	;; [unrolled: 1-line block ×8, first 2 shown]
	v_add_f16_e32 v72, v81, v82
	v_fmac_f16_e32 v76, 0x38b4, v35
	v_fmac_f16_e32 v31, 0xb8b4, v35
	;; [unrolled: 1-line block ×5, first 2 shown]
	v_sub_f16_e32 v24, v26, v29
	v_sub_f16_e32 v27, v20, v23
	v_add_f16_e32 v26, v26, v29
	v_add_f16_e32 v20, v20, v23
	v_mul_f16_e32 v23, 0x3a79, v75
	v_mul_f16_e32 v29, 0x34f2, v78
	;; [unrolled: 1-line block ×5, first 2 shown]
	v_add_f16_e32 v74, v89, v90
	v_mul_f16_e32 v36, 0x3b9c, v47
	v_mul_f16_e32 v35, 0x34f2, v77
	v_fmac_f16_e32 v71, 0xb8b4, v88
	v_mul_f16_e32 v34, 0x3a79, v28
	v_fmac_f16_e32 v76, 0x34f2, v42
	v_fmac_f16_e32 v31, 0x34f2, v42
	;; [unrolled: 1-line block ×3, first 2 shown]
	v_pack_b32_f16 v20, v20, v26
	v_fma_f16 v23, v28, 0xb8b4, -v23
	v_fma_f16 v26, v77, 0xbb9c, -v29
	v_fmac_f16_e32 v30, 0x34f2, v47
	v_fmac_f16_e32 v32, 0x3a79, v39
	;; [unrolled: 1-line block ×6, first 2 shown]
	v_fma_f16 v28, v78, 0x3b9c, -v35
	v_fmac_f16_e32 v71, 0x34f2, v72
	v_pack_b32_f16 v24, v27, v24
	v_fma_f16 v27, v75, 0x38b4, -v34
	global_store_dword v[49:50], v20, off
	v_sub_f16_e32 v20, v25, v23
	v_sub_f16_e32 v22, v76, v26
	;; [unrolled: 1-line block ×3, first 2 shown]
	v_add_f16_e32 v23, v25, v23
	v_add_f16_e32 v25, v76, v26
	;; [unrolled: 1-line block ×5, first 2 shown]
	v_sub_f16_e32 v39, v21, v36
	v_add_f16_e32 v21, v21, v36
	v_sub_f16_e32 v37, v79, v28
	v_add_f16_e32 v28, v79, v28
	;; [unrolled: 2-line block ×3, first 2 shown]
	v_sub_f16_e32 v34, v33, v32
	v_sub_f16_e32 v32, v73, v38
	v_pack_b32_f16 v30, v31, v30
	v_pack_b32_f16 v21, v21, v26
	;; [unrolled: 1-line block ×8, first 2 shown]
	global_store_dword v[51:52], v30, off
	global_store_dword v[53:54], v21, off
	;; [unrolled: 1-line block ×9, first 2 shown]
	s_and_b32 exec_lo, exec_lo, s0
	s_cbranch_execz .LBB0_22
; %bb.21:
	v_subrev_nc_u32_e32 v20, 34, v6
	v_mov_b32_e32 v21, 0
	v_add_nc_u32_e32 v50, 0x176, v6
	v_add_nc_u32_e32 v51, 0x242, v6
	;; [unrolled: 1-line block ×3, first 2 shown]
	v_cndmask_b32_e64 v20, v20, v9, s0
	v_add_nc_u32_e32 v53, 0x3da, v6
	v_mad_u64_u32 v[30:31], null, s2, v50, 0
	v_add_nc_u32_e32 v54, 0x4a6, v6
	v_mul_i32_i24_e32 v20, 9, v20
	v_add_nc_u32_e32 v55, 0x572, v6
	v_add_nc_u32_e32 v56, 0x63e, v6
	;; [unrolled: 1-line block ×4, first 2 shown]
	v_lshlrev_b64 v[20:21], 2, v[20:21]
	v_mad_u64_u32 v[32:33], null, s2, v51, 0
	v_mad_u64_u32 v[34:35], null, s2, v52, 0
	;; [unrolled: 1-line block ×3, first 2 shown]
	v_add_co_u32 v28, vcc_lo, s8, v20
	v_add_co_ci_u32_e32 v29, vcc_lo, s9, v21, vcc_lo
	v_mad_u64_u32 v[38:39], null, s2, v54, 0
	s_clause 0x2
	global_load_dwordx4 v[20:23], v[28:29], off offset:748
	global_load_dwordx4 v[24:27], v[28:29], off offset:764
	global_load_dword v58, v[28:29], off offset:780
	v_mad_u64_u32 v[28:29], null, s2, v9, 0
	v_mad_u64_u32 v[40:41], null, s2, v55, 0
	v_mad_u64_u32 v[42:43], null, s2, v56, 0
	v_mad_u64_u32 v[44:45], null, s2, v57, 0
	v_mov_b32_e32 v6, v29
	v_mov_b32_e32 v29, v35
	;; [unrolled: 1-line block ×3, first 2 shown]
	v_mad_u64_u32 v[46:47], null, s2, v63, 0
	v_mad_u64_u32 v[48:49], null, s3, v9, v[6:7]
	v_mov_b32_e32 v6, v31
	v_mov_b32_e32 v9, v33
	;; [unrolled: 1-line block ×5, first 2 shown]
	v_mad_u64_u32 v[49:50], null, s3, v50, v[6:7]
	v_mad_u64_u32 v[50:51], null, s3, v51, v[9:10]
	;; [unrolled: 1-line block ×3, first 2 shown]
	v_mov_b32_e32 v29, v48
	v_mad_u64_u32 v[52:53], null, s3, v53, v[31:32]
	v_mov_b32_e32 v31, v49
	v_mad_u64_u32 v[53:54], null, s3, v54, v[33:34]
	v_lshlrev_b64 v[28:29], 2, v[28:29]
	v_mov_b32_e32 v33, v50
	v_lshlrev_b64 v[30:31], 2, v[30:31]
	v_mad_u64_u32 v[54:55], null, s3, v55, v[35:36]
	v_mov_b32_e32 v35, v51
	v_mov_b32_e32 v39, v45
	v_lshlrev_b64 v[32:33], 2, v[32:33]
	v_add_co_u32 v28, vcc_lo, v2, v28
	v_mad_u64_u32 v[55:56], null, s3, v56, v[37:38]
	v_mov_b32_e32 v37, v52
	v_mov_b32_e32 v41, v47
	v_add_co_ci_u32_e32 v29, vcc_lo, v3, v29, vcc_lo
	v_lshlrev_b64 v[34:35], 2, v[34:35]
	v_add_co_u32 v30, vcc_lo, v2, v30
	v_mad_u64_u32 v[47:48], null, s3, v57, v[39:40]
	v_mov_b32_e32 v39, v53
	v_add_co_ci_u32_e32 v31, vcc_lo, v3, v31, vcc_lo
	v_lshlrev_b64 v[36:37], 2, v[36:37]
	v_add_co_u32 v32, vcc_lo, v2, v32
	v_mad_u64_u32 v[56:57], null, s3, v63, v[41:42]
	v_mov_b32_e32 v41, v54
	v_add_co_ci_u32_e32 v33, vcc_lo, v3, v33, vcc_lo
	v_lshlrev_b64 v[38:39], 2, v[38:39]
	v_add_co_u32 v34, vcc_lo, v2, v34
	v_mov_b32_e32 v43, v55
	v_add_co_ci_u32_e32 v35, vcc_lo, v3, v35, vcc_lo
	v_lshlrev_b64 v[40:41], 2, v[40:41]
	v_add_co_u32 v36, vcc_lo, v2, v36
	;; [unrolled: 4-line block ×4, first 2 shown]
	v_add_co_ci_u32_e32 v41, vcc_lo, v3, v41, vcc_lo
	v_lshlrev_b64 v[46:47], 2, v[46:47]
	v_add_co_u32 v42, vcc_lo, v2, v42
	v_add_co_ci_u32_e32 v43, vcc_lo, v3, v43, vcc_lo
	v_lshrrev_b32_e32 v59, 16, v0
	v_lshrrev_b32_e32 v60, 16, v4
	;; [unrolled: 1-line block ×4, first 2 shown]
	v_add_co_u32 v44, vcc_lo, v2, v44
	v_add_co_ci_u32_e32 v45, vcc_lo, v3, v45, vcc_lo
	v_add_co_u32 v2, vcc_lo, v2, v46
	v_add_co_ci_u32_e32 v3, vcc_lo, v3, v47, vcc_lo
	s_waitcnt vmcnt(2)
	v_mul_f16_sdwa v6, v12, v20 dst_sel:DWORD dst_unused:UNUSED_PAD src0_sel:DWORD src1_sel:WORD_1
	v_mul_f16_sdwa v46, v8, v21 dst_sel:DWORD dst_unused:UNUSED_PAD src0_sel:DWORD src1_sel:WORD_1
	;; [unrolled: 1-line block ×7, first 2 shown]
	s_waitcnt vmcnt(1)
	v_mul_f16_sdwa v52, v5, v24 dst_sel:DWORD dst_unused:UNUSED_PAD src0_sel:DWORD src1_sel:WORD_1
	v_mul_f16_sdwa v53, v1, v24 dst_sel:DWORD dst_unused:UNUSED_PAD src0_sel:DWORD src1_sel:WORD_1
	;; [unrolled: 1-line block ×9, first 2 shown]
	s_waitcnt vmcnt(0)
	v_mul_f16_sdwa v65, v17, v58 dst_sel:DWORD dst_unused:UNUSED_PAD src0_sel:DWORD src1_sel:WORD_1
	v_mul_f16_sdwa v66, v14, v58 dst_sel:DWORD dst_unused:UNUSED_PAD src0_sel:DWORD src1_sel:WORD_1
	v_fma_f16 v6, v10, v20, -v6
	v_fma_f16 v7, v7, v21, -v46
	v_fmac_f16_e32 v47, v8, v21
	v_fma_f16 v0, v0, v22, -v48
	v_fmac_f16_e32 v49, v4, v22
	;; [unrolled: 2-line block ×7, first 2 shown]
	v_fmac_f16_e32 v9, v12, v20
	v_fma_f16 v12, v14, v58, -v65
	v_fmac_f16_e32 v66, v17, v58
	v_add_f16_e32 v14, v11, v7
	v_add_f16_e32 v15, v4, v5
	v_sub_f16_e32 v18, v7, v4
	v_sub_f16_e32 v19, v10, v5
	v_add_f16_e32 v20, v7, v10
	v_add_f16_e32 v23, v13, v47
	;; [unrolled: 1-line block ×9, first 2 shown]
	v_sub_f16_e32 v21, v4, v7
	v_sub_f16_e32 v22, v5, v10
	;; [unrolled: 1-line block ×8, first 2 shown]
	v_add_f16_e32 v63, v9, v49
	v_sub_f16_e32 v0, v0, v12
	v_sub_f16_e32 v67, v1, v8
	v_add_f16_e32 v4, v14, v4
	v_fma_f16 v14, -0.5, v15, v11
	v_add_f16_e32 v15, v18, v19
	v_fmac_f16_e32 v11, -0.5, v20
	v_add_f16_e32 v19, v23, v51
	v_fma_f16 v20, -0.5, v24, v13
	v_fmac_f16_e32 v13, -0.5, v46
	v_add_f16_e32 v1, v50, v1
	v_fma_f16 v23, -0.5, v52, v6
	v_fma_f16 v46, -0.5, v65, v9
	v_sub_f16_e32 v56, v53, v57
	v_fmac_f16_e32 v6, -0.5, v60
	v_fmac_f16_e32 v9, -0.5, v70
	v_sub_f16_e32 v16, v47, v64
	v_sub_f16_e32 v47, v51, v47
	;; [unrolled: 1-line block ×8, first 2 shown]
	v_add_f16_e32 v18, v21, v22
	v_add_f16_e32 v21, v26, v27
	;; [unrolled: 1-line block ×4, first 2 shown]
	v_fmamk_f16 v8, v54, 0x3b9c, v23
	v_fmamk_f16 v53, v0, 0xbb9c, v46
	v_sub_f16_e32 v17, v51, v55
	v_sub_f16_e32 v71, v57, v66
	v_add_f16_e32 v19, v19, v55
	v_fmamk_f16 v52, v56, 0xbb9c, v6
	v_fmamk_f16 v55, v67, 0x3b9c, v9
	v_fmac_f16_e32 v6, 0x3b9c, v56
	v_fmac_f16_e32 v9, 0xbb9c, v67
	v_sub_f16_e32 v7, v7, v10
	v_fmac_f16_e32 v23, 0xbb9c, v54
	v_fmac_f16_e32 v46, 0x3b9c, v0
	v_add_f16_e32 v22, v47, v48
	v_add_f16_e32 v24, v58, v59
	;; [unrolled: 1-line block ×4, first 2 shown]
	v_fmamk_f16 v51, v25, 0x3b9c, v13
	v_fmac_f16_e32 v13, 0xbb9c, v25
	v_add_f16_e32 v27, v27, v57
	v_fmac_f16_e32 v8, 0x38b4, v56
	v_fmac_f16_e32 v53, 0xb8b4, v67
	v_add_f16_e32 v26, v61, v62
	v_add_f16_e32 v48, v49, v71
	v_fmamk_f16 v49, v17, 0xbb9c, v11
	v_fmac_f16_e32 v11, 0x3b9c, v17
	v_fmac_f16_e32 v52, 0x38b4, v54
	v_fmac_f16_e32 v55, 0xb8b4, v0
	v_fmamk_f16 v5, v16, 0x3b9c, v14
	v_fmac_f16_e32 v14, 0xbb9c, v16
	v_fmac_f16_e32 v6, 0xb8b4, v54
	v_fmac_f16_e32 v9, 0x38b4, v0
	;; [unrolled: 4-line block ×3, first 2 shown]
	v_add_f16_e32 v4, v4, v10
	v_add_f16_e32 v10, v19, v64
	v_fmac_f16_e32 v51, 0xb8b4, v7
	v_fmac_f16_e32 v13, 0x38b4, v7
	v_add_f16_e32 v1, v1, v12
	v_add_f16_e32 v7, v27, v66
	v_fmac_f16_e32 v8, 0x34f2, v24
	v_fmac_f16_e32 v53, 0x34f2, v47
	;; [unrolled: 1-line block ×14, first 2 shown]
	v_add_f16_e32 v0, v4, v1
	v_add_f16_e32 v12, v10, v7
	v_sub_f16_e32 v1, v4, v1
	v_sub_f16_e32 v4, v10, v7
	v_mul_f16_e32 v7, 0x38b4, v53
	v_mul_f16_e32 v17, 0xb8b4, v8
	v_fmac_f16_e32 v49, 0x34f2, v18
	v_fmac_f16_e32 v11, 0x34f2, v18
	v_mul_f16_e32 v10, 0x3b9c, v55
	v_mul_f16_e32 v18, 0xbb9c, v52
	v_fmac_f16_e32 v5, 0x34f2, v15
	v_fmac_f16_e32 v14, 0x34f2, v15
	;; [unrolled: 4-line block ×3, first 2 shown]
	v_mul_f16_e32 v16, 0x3a79, v23
	v_mul_f16_e32 v21, 0x3a79, v46
	v_pack_b32_f16 v0, v0, v12
	v_fmac_f16_e32 v7, 0x3a79, v8
	v_fmac_f16_e32 v17, 0x3a79, v53
	;; [unrolled: 1-line block ×6, first 2 shown]
	v_pack_b32_f16 v1, v1, v4
	v_fma_f16 v4, v9, 0x3b9c, -v15
	v_fma_f16 v6, v6, 0xbb9c, -v19
	;; [unrolled: 1-line block ×4, first 2 shown]
	global_store_dword v[28:29], v0, off
	v_add_f16_e32 v0, v5, v7
	v_add_f16_e32 v19, v50, v17
	;; [unrolled: 1-line block ×8, first 2 shown]
	v_sub_f16_e32 v5, v5, v7
	v_sub_f16_e32 v7, v49, v10
	v_sub_f16_e32 v4, v11, v4
	v_sub_f16_e32 v8, v14, v8
	v_sub_f16_e32 v10, v50, v17
	v_sub_f16_e32 v11, v51, v18
	v_sub_f16_e32 v6, v13, v6
	v_sub_f16_e32 v9, v20, v9
	v_pack_b32_f16 v0, v0, v19
	v_pack_b32_f16 v12, v12, v21
	v_pack_b32_f16 v13, v15, v22
	v_pack_b32_f16 v14, v16, v23
	v_pack_b32_f16 v5, v5, v10
	v_pack_b32_f16 v7, v7, v11
	v_pack_b32_f16 v4, v4, v6
	v_pack_b32_f16 v6, v8, v9
	global_store_dword v[30:31], v0, off
	global_store_dword v[32:33], v12, off
	;; [unrolled: 1-line block ×9, first 2 shown]
.LBB0_22:
	s_endpgm
	.section	.rodata,"a",@progbits
	.p2align	6, 0x0
	.amdhsa_kernel fft_rtc_fwd_len2040_factors_17_4_3_10_wgs_170_tpt_170_halfLds_half_ip_CI_sbrr_dirReg
		.amdhsa_group_segment_fixed_size 0
		.amdhsa_private_segment_fixed_size 0
		.amdhsa_kernarg_size 88
		.amdhsa_user_sgpr_count 6
		.amdhsa_user_sgpr_private_segment_buffer 1
		.amdhsa_user_sgpr_dispatch_ptr 0
		.amdhsa_user_sgpr_queue_ptr 0
		.amdhsa_user_sgpr_kernarg_segment_ptr 1
		.amdhsa_user_sgpr_dispatch_id 0
		.amdhsa_user_sgpr_flat_scratch_init 0
		.amdhsa_user_sgpr_private_segment_size 0
		.amdhsa_wavefront_size32 1
		.amdhsa_uses_dynamic_stack 0
		.amdhsa_system_sgpr_private_segment_wavefront_offset 0
		.amdhsa_system_sgpr_workgroup_id_x 1
		.amdhsa_system_sgpr_workgroup_id_y 0
		.amdhsa_system_sgpr_workgroup_id_z 0
		.amdhsa_system_sgpr_workgroup_info 0
		.amdhsa_system_vgpr_workitem_id 0
		.amdhsa_next_free_vgpr 114
		.amdhsa_next_free_sgpr 23
		.amdhsa_reserve_vcc 1
		.amdhsa_reserve_flat_scratch 0
		.amdhsa_float_round_mode_32 0
		.amdhsa_float_round_mode_16_64 0
		.amdhsa_float_denorm_mode_32 3
		.amdhsa_float_denorm_mode_16_64 3
		.amdhsa_dx10_clamp 1
		.amdhsa_ieee_mode 1
		.amdhsa_fp16_overflow 0
		.amdhsa_workgroup_processor_mode 1
		.amdhsa_memory_ordered 1
		.amdhsa_forward_progress 0
		.amdhsa_shared_vgpr_count 0
		.amdhsa_exception_fp_ieee_invalid_op 0
		.amdhsa_exception_fp_denorm_src 0
		.amdhsa_exception_fp_ieee_div_zero 0
		.amdhsa_exception_fp_ieee_overflow 0
		.amdhsa_exception_fp_ieee_underflow 0
		.amdhsa_exception_fp_ieee_inexact 0
		.amdhsa_exception_int_div_zero 0
	.end_amdhsa_kernel
	.text
.Lfunc_end0:
	.size	fft_rtc_fwd_len2040_factors_17_4_3_10_wgs_170_tpt_170_halfLds_half_ip_CI_sbrr_dirReg, .Lfunc_end0-fft_rtc_fwd_len2040_factors_17_4_3_10_wgs_170_tpt_170_halfLds_half_ip_CI_sbrr_dirReg
                                        ; -- End function
	.section	.AMDGPU.csdata,"",@progbits
; Kernel info:
; codeLenInByte = 14224
; NumSgprs: 25
; NumVgprs: 114
; ScratchSize: 0
; MemoryBound: 0
; FloatMode: 240
; IeeeMode: 1
; LDSByteSize: 0 bytes/workgroup (compile time only)
; SGPRBlocks: 3
; VGPRBlocks: 14
; NumSGPRsForWavesPerEU: 25
; NumVGPRsForWavesPerEU: 114
; Occupancy: 8
; WaveLimiterHint : 1
; COMPUTE_PGM_RSRC2:SCRATCH_EN: 0
; COMPUTE_PGM_RSRC2:USER_SGPR: 6
; COMPUTE_PGM_RSRC2:TRAP_HANDLER: 0
; COMPUTE_PGM_RSRC2:TGID_X_EN: 1
; COMPUTE_PGM_RSRC2:TGID_Y_EN: 0
; COMPUTE_PGM_RSRC2:TGID_Z_EN: 0
; COMPUTE_PGM_RSRC2:TIDIG_COMP_CNT: 0
	.text
	.p2alignl 6, 3214868480
	.fill 48, 4, 3214868480
	.type	__hip_cuid_c770b03ee015913b,@object ; @__hip_cuid_c770b03ee015913b
	.section	.bss,"aw",@nobits
	.globl	__hip_cuid_c770b03ee015913b
__hip_cuid_c770b03ee015913b:
	.byte	0                               ; 0x0
	.size	__hip_cuid_c770b03ee015913b, 1

	.ident	"AMD clang version 19.0.0git (https://github.com/RadeonOpenCompute/llvm-project roc-6.4.0 25133 c7fe45cf4b819c5991fe208aaa96edf142730f1d)"
	.section	".note.GNU-stack","",@progbits
	.addrsig
	.addrsig_sym __hip_cuid_c770b03ee015913b
	.amdgpu_metadata
---
amdhsa.kernels:
  - .args:
      - .actual_access:  read_only
        .address_space:  global
        .offset:         0
        .size:           8
        .value_kind:     global_buffer
      - .offset:         8
        .size:           8
        .value_kind:     by_value
      - .actual_access:  read_only
        .address_space:  global
        .offset:         16
        .size:           8
        .value_kind:     global_buffer
      - .actual_access:  read_only
        .address_space:  global
        .offset:         24
        .size:           8
        .value_kind:     global_buffer
      - .offset:         32
        .size:           8
        .value_kind:     by_value
      - .actual_access:  read_only
        .address_space:  global
        .offset:         40
        .size:           8
        .value_kind:     global_buffer
      - .actual_access:  read_only
        .address_space:  global
        .offset:         48
        .size:           8
        .value_kind:     global_buffer
      - .offset:         56
        .size:           4
        .value_kind:     by_value
      - .actual_access:  read_only
        .address_space:  global
        .offset:         64
        .size:           8
        .value_kind:     global_buffer
      - .actual_access:  read_only
        .address_space:  global
        .offset:         72
        .size:           8
        .value_kind:     global_buffer
      - .address_space:  global
        .offset:         80
        .size:           8
        .value_kind:     global_buffer
    .group_segment_fixed_size: 0
    .kernarg_segment_align: 8
    .kernarg_segment_size: 88
    .language:       OpenCL C
    .language_version:
      - 2
      - 0
    .max_flat_workgroup_size: 170
    .name:           fft_rtc_fwd_len2040_factors_17_4_3_10_wgs_170_tpt_170_halfLds_half_ip_CI_sbrr_dirReg
    .private_segment_fixed_size: 0
    .sgpr_count:     25
    .sgpr_spill_count: 0
    .symbol:         fft_rtc_fwd_len2040_factors_17_4_3_10_wgs_170_tpt_170_halfLds_half_ip_CI_sbrr_dirReg.kd
    .uniform_work_group_size: 1
    .uses_dynamic_stack: false
    .vgpr_count:     114
    .vgpr_spill_count: 0
    .wavefront_size: 32
    .workgroup_processor_mode: 1
amdhsa.target:   amdgcn-amd-amdhsa--gfx1030
amdhsa.version:
  - 1
  - 2
...

	.end_amdgpu_metadata
